;; amdgpu-corpus repo=ROCm/rocFFT kind=compiled arch=gfx1030 opt=O3
	.text
	.amdgcn_target "amdgcn-amd-amdhsa--gfx1030"
	.amdhsa_code_object_version 6
	.protected	bluestein_single_fwd_len910_dim1_half_op_CI_CI ; -- Begin function bluestein_single_fwd_len910_dim1_half_op_CI_CI
	.globl	bluestein_single_fwd_len910_dim1_half_op_CI_CI
	.p2align	8
	.type	bluestein_single_fwd_len910_dim1_half_op_CI_CI,@function
bluestein_single_fwd_len910_dim1_half_op_CI_CI: ; @bluestein_single_fwd_len910_dim1_half_op_CI_CI
; %bb.0:
	s_load_dwordx4 s[0:3], s[4:5], 0x28
	v_mul_u32_u24_e32 v1, 0x2d1, v0
	v_mov_b32_e32 v17, 0
	v_lshrrev_b32_e32 v1, 16, v1
	v_lshl_add_u32 v16, s6, 1, v1
	s_waitcnt lgkmcnt(0)
	v_cmp_gt_u64_e32 vcc_lo, s[0:1], v[16:17]
	s_and_saveexec_b32 s0, vcc_lo
	s_cbranch_execz .LBB0_23
; %bb.1:
	v_mul_lo_u16 v2, 0x5b, v1
	s_clause 0x1
	s_load_dwordx2 s[10:11], s[4:5], 0x0
	s_load_dwordx2 s[8:9], s[4:5], 0x38
	v_and_b32_e32 v1, 1, v1
	v_sub_nc_u16 v0, v0, v2
	v_cmp_eq_u32_e32 vcc_lo, 1, v1
	v_and_b32_e32 v37, 0xffff, v0
	v_cndmask_b32_e64 v27, 0, 0x38e, vcc_lo
	v_cmp_gt_u16_e32 vcc_lo, 0x46, v0
	v_lshlrev_b32_e32 v38, 2, v37
	v_lshlrev_b32_e32 v39, 2, v27
	s_and_saveexec_b32 s1, vcc_lo
	s_cbranch_execz .LBB0_3
; %bb.2:
	s_load_dwordx2 s[6:7], s[4:5], 0x18
	s_waitcnt lgkmcnt(0)
	s_load_dwordx4 s[12:15], s[6:7], 0x0
	s_waitcnt lgkmcnt(0)
	v_mad_u64_u32 v[0:1], null, s14, v16, 0
	v_mad_u64_u32 v[2:3], null, s12, v37, 0
	s_mul_i32 s6, s13, 0x118
	s_mul_hi_u32 s7, s12, 0x118
	s_add_i32 s7, s7, s6
	v_mad_u64_u32 v[4:5], null, s15, v16, v[1:2]
	v_mad_u64_u32 v[5:6], null, s13, v37, v[3:4]
	v_mov_b32_e32 v1, v4
	v_lshlrev_b64 v[0:1], 2, v[0:1]
	v_mov_b32_e32 v3, v5
	v_add_co_u32 v0, s0, s2, v0
	v_lshlrev_b64 v[2:3], 2, v[2:3]
	v_add_co_ci_u32_e64 v1, s0, s3, v1, s0
	s_mul_i32 s2, s12, 0x118
	v_add_co_u32 v0, s0, v0, v2
	v_add_co_ci_u32_e64 v1, s0, v1, v3, s0
	v_add_co_u32 v2, s0, v0, s2
	v_add_co_ci_u32_e64 v3, s0, s7, v1, s0
	;; [unrolled: 2-line block ×3, first 2 shown]
	v_add_co_u32 v6, s0, s10, v38
	v_add_co_ci_u32_e64 v7, null, s11, 0, s0
	global_load_dword v8, v38, s[10:11]
	s_clause 0x2
	global_load_dword v9, v[0:1], off
	global_load_dword v10, v[2:3], off
	;; [unrolled: 1-line block ×3, first 2 shown]
	v_add_co_u32 v0, s0, v4, s2
	v_add_co_ci_u32_e64 v1, s0, s7, v5, s0
	s_clause 0x6
	global_load_dword v12, v38, s[10:11] offset:280
	global_load_dword v13, v38, s[10:11] offset:560
	;; [unrolled: 1-line block ×7, first 2 shown]
	v_add_co_u32 v2, s0, v0, s2
	v_add_co_ci_u32_e64 v3, s0, s7, v1, s0
	s_clause 0x1
	global_load_dword v20, v[0:1], off
	global_load_dword v21, v[2:3], off
	v_add_co_u32 v0, s0, v2, s2
	v_add_co_ci_u32_e64 v1, s0, s7, v3, s0
	v_add_co_u32 v2, s0, v0, s2
	v_add_co_ci_u32_e64 v3, s0, s7, v1, s0
	;; [unrolled: 2-line block ×3, first 2 shown]
	global_load_dword v6, v[0:1], off
	global_load_dword v7, v[2:3], off
	v_add_co_u32 v0, s0, v2, s2
	v_add_co_ci_u32_e64 v1, s0, s7, v3, s0
	s_clause 0x1
	global_load_dword v22, v[4:5], off offset:192
	global_load_dword v23, v[4:5], off offset:472
	v_add_co_u32 v2, s0, v0, s2
	v_add_co_ci_u32_e64 v3, s0, s7, v1, s0
	global_load_dword v24, v[0:1], off
	v_add_co_u32 v0, s0, v2, s2
	v_add_co_ci_u32_e64 v1, s0, s7, v3, s0
	global_load_dword v25, v[2:3], off
	;; [unrolled: 3-line block ×4, first 2 shown]
	v_add_co_u32 v2, s0, v0, s2
	v_add_co_ci_u32_e64 v3, s0, s7, v1, s0
	global_load_dword v29, v[4:5], off offset:752
	global_load_dword v0, v[0:1], off
	global_load_dword v1, v[2:3], off
	s_clause 0x1
	global_load_dword v2, v[4:5], off offset:1032
	global_load_dword v3, v[4:5], off offset:1312
	v_lshl_add_u32 v5, v37, 2, v39
	v_add_nc_u32_e32 v4, v39, v38
	v_add_nc_u32_e32 v31, 0x200, v4
	;; [unrolled: 1-line block ×5, first 2 shown]
	s_waitcnt vmcnt(24)
	v_lshrrev_b32_e32 v30, 16, v9
	v_mul_f16_sdwa v33, v8, v9 dst_sel:DWORD dst_unused:UNUSED_PAD src0_sel:WORD_1 src1_sel:DWORD
	s_waitcnt vmcnt(23)
	v_lshrrev_b32_e32 v36, 16, v10
	s_waitcnt vmcnt(20)
	v_mul_f16_sdwa v41, v13, v11 dst_sel:DWORD dst_unused:UNUSED_PAD src0_sel:WORD_1 src1_sel:DWORD
	v_mul_f16_sdwa v35, v8, v30 dst_sel:DWORD dst_unused:UNUSED_PAD src0_sel:WORD_1 src1_sel:DWORD
	v_fma_f16 v30, v8, v30, -v33
	v_mul_f16_sdwa v33, v12, v10 dst_sel:DWORD dst_unused:UNUSED_PAD src0_sel:WORD_1 src1_sel:DWORD
	v_fmac_f16_e32 v35, v8, v9
	v_mul_f16_sdwa v8, v12, v36 dst_sel:DWORD dst_unused:UNUSED_PAD src0_sel:WORD_1 src1_sel:DWORD
	v_lshrrev_b32_e32 v9, 16, v11
	v_fma_f16 v33, v12, v36, -v33
	v_pack_b32_f16 v30, v35, v30
	v_fmac_f16_e32 v8, v12, v10
	v_mul_f16_sdwa v10, v13, v9 dst_sel:DWORD dst_unused:UNUSED_PAD src0_sel:WORD_1 src1_sel:DWORD
	s_waitcnt vmcnt(14)
	v_lshrrev_b32_e32 v12, 16, v20
	v_fma_f16 v9, v13, v9, -v41
	v_mul_f16_sdwa v35, v14, v20 dst_sel:DWORD dst_unused:UNUSED_PAD src0_sel:WORD_1 src1_sel:DWORD
	ds_write_b32 v5, v30
	v_pack_b32_f16 v5, v8, v33
	v_fmac_f16_e32 v10, v13, v11
	v_mul_f16_sdwa v8, v14, v12 dst_sel:DWORD dst_unused:UNUSED_PAD src0_sel:WORD_1 src1_sel:DWORD
	s_waitcnt vmcnt(13)
	v_lshrrev_b32_e32 v11, 16, v21
	v_mul_f16_sdwa v13, v15, v21 dst_sel:DWORD dst_unused:UNUSED_PAD src0_sel:WORD_1 src1_sel:DWORD
	v_fma_f16 v12, v14, v12, -v35
	v_pack_b32_f16 v9, v10, v9
	v_fmac_f16_e32 v8, v14, v20
	v_mul_f16_sdwa v10, v15, v11 dst_sel:DWORD dst_unused:UNUSED_PAD src0_sel:WORD_1 src1_sel:DWORD
	v_fma_f16 v11, v15, v11, -v13
	s_waitcnt vmcnt(12)
	v_lshrrev_b32_e32 v13, 16, v6
	v_mul_f16_sdwa v14, v17, v6 dst_sel:DWORD dst_unused:UNUSED_PAD src0_sel:WORD_1 src1_sel:DWORD
	ds_write2_b32 v4, v5, v9 offset0:70 offset1:140
	v_pack_b32_f16 v5, v8, v12
	v_fmac_f16_e32 v10, v15, v21
	v_mul_f16_sdwa v8, v17, v13 dst_sel:DWORD dst_unused:UNUSED_PAD src0_sel:WORD_1 src1_sel:DWORD
	s_waitcnt vmcnt(11)
	v_lshrrev_b32_e32 v9, 16, v7
	v_fma_f16 v12, v17, v13, -v14
	v_mul_f16_sdwa v13, v18, v7 dst_sel:DWORD dst_unused:UNUSED_PAD src0_sel:WORD_1 src1_sel:DWORD
	v_pack_b32_f16 v10, v10, v11
	v_fmac_f16_e32 v8, v17, v6
	v_mul_f16_sdwa v6, v18, v9 dst_sel:DWORD dst_unused:UNUSED_PAD src0_sel:WORD_1 src1_sel:DWORD
	s_waitcnt vmcnt(8)
	v_lshrrev_b32_e32 v11, 16, v24
	v_mul_f16_sdwa v14, v19, v24 dst_sel:DWORD dst_unused:UNUSED_PAD src0_sel:WORD_1 src1_sel:DWORD
	v_fma_f16 v9, v18, v9, -v13
	v_pack_b32_f16 v8, v8, v12
	v_fmac_f16_e32 v6, v18, v7
	v_mul_f16_sdwa v7, v19, v11 dst_sel:DWORD dst_unused:UNUSED_PAD src0_sel:WORD_1 src1_sel:DWORD
	s_waitcnt vmcnt(7)
	v_lshrrev_b32_e32 v12, 16, v25
	v_mul_f16_sdwa v13, v22, v25 dst_sel:DWORD dst_unused:UNUSED_PAD src0_sel:WORD_1 src1_sel:DWORD
	v_fma_f16 v11, v19, v11, -v14
	v_pack_b32_f16 v6, v6, v9
	v_fmac_f16_e32 v7, v19, v24
	s_waitcnt vmcnt(6)
	v_lshrrev_b32_e32 v9, 16, v26
	v_mul_f16_sdwa v14, v22, v12 dst_sel:DWORD dst_unused:UNUSED_PAD src0_sel:WORD_1 src1_sel:DWORD
	v_fma_f16 v12, v22, v12, -v13
	v_mul_f16_sdwa v13, v23, v26 dst_sel:DWORD dst_unused:UNUSED_PAD src0_sel:WORD_1 src1_sel:DWORD
	s_waitcnt vmcnt(5)
	v_lshrrev_b32_e32 v15, 16, v28
	v_pack_b32_f16 v7, v7, v11
	v_mul_f16_sdwa v11, v23, v9 dst_sel:DWORD dst_unused:UNUSED_PAD src0_sel:WORD_1 src1_sel:DWORD
	s_waitcnt vmcnt(3)
	v_lshrrev_b32_e32 v17, 16, v0
	v_fma_f16 v9, v23, v9, -v13
	v_mul_f16_sdwa v13, v29, v28 dst_sel:DWORD dst_unused:UNUSED_PAD src0_sel:WORD_1 src1_sel:DWORD
	s_waitcnt vmcnt(2)
	v_lshrrev_b32_e32 v19, 16, v1
	v_mul_f16_sdwa v18, v29, v15 dst_sel:DWORD dst_unused:UNUSED_PAD src0_sel:WORD_1 src1_sel:DWORD
	v_fmac_f16_e32 v14, v22, v25
	s_waitcnt vmcnt(1)
	v_mul_f16_sdwa v20, v2, v17 dst_sel:DWORD dst_unused:UNUSED_PAD src0_sel:WORD_1 src1_sel:DWORD
	v_fma_f16 v13, v29, v15, -v13
	v_mul_f16_sdwa v15, v2, v0 dst_sel:DWORD dst_unused:UNUSED_PAD src0_sel:WORD_1 src1_sel:DWORD
	s_waitcnt vmcnt(0)
	v_mul_f16_sdwa v21, v3, v1 dst_sel:DWORD dst_unused:UNUSED_PAD src0_sel:WORD_1 src1_sel:DWORD
	v_mul_f16_sdwa v22, v3, v19 dst_sel:DWORD dst_unused:UNUSED_PAD src0_sel:WORD_1 src1_sel:DWORD
	v_fmac_f16_e32 v11, v23, v26
	v_fmac_f16_e32 v18, v29, v28
	v_fma_f16 v15, v2, v17, -v15
	v_fmac_f16_e32 v20, v2, v0
	v_fma_f16 v0, v3, v19, -v21
	v_fmac_f16_e32 v22, v3, v1
	v_pack_b32_f16 v1, v14, v12
	v_pack_b32_f16 v2, v11, v9
	;; [unrolled: 1-line block ×5, first 2 shown]
	v_add_nc_u32_e32 v4, 0xc00, v4
	ds_write2_b32 v31, v5, v10 offset0:82 offset1:152
	ds_write2_b32 v32, v8, v6 offset0:94 offset1:164
	ds_write2_b32 v34, v7, v1 offset0:106 offset1:176
	ds_write2_b32 v40, v2, v3 offset0:118 offset1:188
	ds_write2_b32 v4, v9, v0 offset0:2 offset1:72
.LBB0_3:
	s_or_b32 exec_lo, exec_lo, s1
	s_clause 0x1
	s_load_dwordx2 s[0:1], s[4:5], 0x20
	s_load_dwordx2 s[2:3], s[4:5], 0x8
	v_mov_b32_e32 v4, 0
	s_waitcnt lgkmcnt(0)
	s_barrier
	buffer_gl0_inv
                                        ; implicit-def: $vgpr10
                                        ; implicit-def: $vgpr1
                                        ; implicit-def: $vgpr3
                                        ; implicit-def: $vgpr7
                                        ; implicit-def: $vgpr13
                                        ; implicit-def: $vgpr15
                                        ; kill: def $vgpr0 killed $sgpr0 killed $exec
	s_and_saveexec_b32 s4, vcc_lo
	s_cbranch_execz .LBB0_5
; %bb.4:
	v_lshl_add_u32 v8, v27, 2, v38
	v_add_nc_u32_e32 v0, 0x400, v8
	v_add_nc_u32_e32 v1, 0x800, v8
	;; [unrolled: 1-line block ×3, first 2 shown]
	ds_read2_b32 v[4:5], v8 offset1:70
	ds_read2_b32 v[14:15], v8 offset0:140 offset1:210
	ds_read2_b32 v[12:13], v0 offset0:24 offset1:94
	;; [unrolled: 1-line block ×5, first 2 shown]
	ds_read_b32 v10, v8 offset:3360
.LBB0_5:
	s_or_b32 exec_lo, exec_lo, s4
	s_waitcnt lgkmcnt(0)
	v_pk_add_f16 v17, v5, v10 neg_lo:[0,1] neg_hi:[0,1]
	v_pk_add_f16 v19, v10, v5
	v_mov_b32_e32 v8, 0xb770
	v_mov_b32_e32 v81, 0xbbf1
	v_pk_add_f16 v18, v14, v1 neg_lo:[0,1] neg_hi:[0,1]
	v_mul_f16_e32 v45, 0xbbf1, v17
	v_lshrrev_b32_e32 v48, 16, v19
	v_mul_f16_sdwa v25, v17, v8 dst_sel:DWORD dst_unused:UNUSED_PAD src0_sel:WORD_1 src1_sel:DWORD
	v_mul_f16_e32 v34, 0xba95, v17
	v_mul_f16_sdwa v41, v17, v81 dst_sel:DWORD dst_unused:UNUSED_PAD src0_sel:WORD_1 src1_sel:DWORD
	v_mov_b32_e32 v78, 0xba95
	v_fma_f16 v20, v48, 0x2fb7, -v45
	v_pk_add_f16 v21, v1, v14
	v_mov_b32_e32 v28, 0xb3a8
	v_fmamk_f16 v8, v19, 0x3b15, v25
	v_fma_f16 v9, v48, 0x388b, -v34
	v_fmamk_f16 v11, v19, 0x2fb7, v41
	v_add_f16_sdwa v23, v20, v4 dst_sel:DWORD dst_unused:UNUSED_PAD src0_sel:DWORD src1_sel:WORD_1
	v_mul_f16_sdwa v32, v18, v78 dst_sel:DWORD dst_unused:UNUSED_PAD src0_sel:WORD_1 src1_sel:DWORD
	v_lshrrev_b32_e32 v52, 16, v21
	v_mul_f16_e32 v43, 0xbb7b, v18
	v_mul_f16_sdwa v47, v18, v28 dst_sel:DWORD dst_unused:UNUSED_PAD src0_sel:WORD_1 src1_sel:DWORD
	v_mul_f16_e32 v51, 0xb3a8, v18
	v_pk_add_f16 v20, v15, v0 neg_lo:[0,1] neg_hi:[0,1]
	v_add_f16_e32 v8, v8, v4
	v_add_f16_sdwa v9, v9, v4 dst_sel:DWORD dst_unused:UNUSED_PAD src0_sel:DWORD src1_sel:WORD_1
	v_add_f16_e32 v11, v11, v4
	v_fmamk_f16 v24, v21, 0x388b, v32
	v_fma_f16 v26, v52, 0xb5ac, -v43
	v_fmamk_f16 v29, v21, 0xbbc4, v47
	v_fma_f16 v30, v52, 0xbbc4, -v51
	v_pk_add_f16 v22, v0, v15
	v_mul_f16_sdwa v33, v20, v81 dst_sel:DWORD dst_unused:UNUSED_PAD src0_sel:WORD_1 src1_sel:DWORD
	v_add_f16_e32 v8, v24, v8
	v_add_f16_e32 v9, v26, v9
	;; [unrolled: 1-line block ×4, first 2 shown]
	v_fmamk_f16 v29, v22, 0x2fb7, v33
	v_mov_b32_e32 v24, 0x3b7b
	v_lshrrev_b32_e32 v59, 16, v22
	v_pk_add_f16 v23, v12, v3 neg_lo:[0,1] neg_hi:[0,1]
	v_mov_b32_e32 v80, 0xbb7b
	v_mul_f16_e32 v60, 0x3b7b, v20
	v_mul_f16_e32 v49, 0xb3a8, v20
	v_mul_f16_sdwa v55, v20, v24 dst_sel:DWORD dst_unused:UNUSED_PAD src0_sel:WORD_1 src1_sel:DWORD
	v_pk_add_f16 v24, v3, v12
	v_mul_f16_sdwa v36, v23, v80 dst_sel:DWORD dst_unused:UNUSED_PAD src0_sel:WORD_1 src1_sel:DWORD
	v_add_f16_e32 v8, v29, v8
	v_fma_f16 v29, v59, 0xb5ac, -v60
	v_mov_b32_e32 v82, 0x3770
	v_fma_f16 v30, v59, 0xbbc4, -v49
	v_fmamk_f16 v31, v22, 0xb5ac, v55
	v_fmamk_f16 v35, v24, 0xb5ac, v36
	v_add_f16_e32 v29, v29, v26
	v_lshrrev_b32_e32 v62, 16, v24
	v_mul_f16_e32 v46, 0x394e, v23
	v_mul_f16_sdwa v56, v23, v82 dst_sel:DWORD dst_unused:UNUSED_PAD src0_sel:WORD_1 src1_sel:DWORD
	v_pk_add_f16 v26, v13, v2 neg_lo:[0,1] neg_hi:[0,1]
	v_mov_b32_e32 v83, 0xb94e
	v_add_f16_e32 v9, v30, v9
	v_add_f16_e32 v11, v31, v11
	;; [unrolled: 1-line block ×3, first 2 shown]
	v_mul_f16_e32 v61, 0x3770, v23
	v_pk_add_f16 v31, v2, v13
	v_fma_f16 v30, v62, 0xb9fd, -v46
	v_fmamk_f16 v35, v24, 0x3b15, v56
	v_mul_f16_sdwa v44, v26, v83 dst_sel:DWORD dst_unused:UNUSED_PAD src0_sel:WORD_1 src1_sel:DWORD
	v_fma_f16 v40, v62, 0x3b15, -v61
	v_lshrrev_b32_e32 v67, 16, v31
	v_mul_f16_e32 v50, 0x3bf1, v26
	v_add_f16_e32 v9, v30, v9
	v_add_f16_e32 v11, v35, v11
	v_fmamk_f16 v30, v31, 0xb9fd, v44
	v_pk_mul_f16 v35, 0x3b15388b, v19
	v_add_f16_e32 v29, v40, v29
	v_fma_f16 v40, v67, 0x2fb7, -v50
	v_mul_f16_sdwa v66, v26, v78 dst_sel:DWORD dst_unused:UNUSED_PAD src0_sel:WORD_1 src1_sel:DWORD
	v_add_f16_e32 v8, v30, v8
	v_pk_mul_f16 v30, 0x388bb5ac, v21
	v_pk_fma_f16 v53, 0xba95b770, v17, v35 op_sel:[0,0,1] op_sel_hi:[1,1,0]
	v_add_f16_e32 v84, v40, v9
	v_mul_f16_e32 v73, 0xba95, v26
	v_fmamk_f16 v9, v31, 0x388b, v66
	v_pk_fma_f16 v54, 0xbb7bba95, v18, v30 op_sel:[0,0,1] op_sel_hi:[1,1,0]
	v_add_f16_sdwa v42, v53, v4 dst_sel:DWORD dst_unused:UNUSED_PAD src0_sel:WORD_1 src1_sel:DWORD
	v_pk_mul_f16 v69, 0x2fb7bbc4, v22
	v_pk_fma_f16 v64, 0xba95b770, v17, v35 op_sel:[0,0,1] op_sel_hi:[1,1,0] neg_lo:[0,1,0] neg_hi:[0,1,0]
	v_fma_f16 v57, v67, 0x388b, -v73
	v_add_f16_e32 v11, v9, v11
	v_pk_add_f16 v40, v6, v7 neg_lo:[0,1] neg_hi:[0,1]
	v_add_f16_sdwa v9, v54, v42 dst_sel:DWORD dst_unused:UNUSED_PAD src0_sel:WORD_1 src1_sel:DWORD
	v_pk_fma_f16 v58, 0xb3a8bbf1, v20, v69 op_sel:[0,0,1] op_sel_hi:[1,1,0]
	v_pk_mul_f16 v71, 0xb5acb9fd, v24
	v_pk_fma_f16 v68, 0xbb7bba95, v18, v30 op_sel:[0,0,1] op_sel_hi:[1,1,0] neg_lo:[0,1,0] neg_hi:[0,1,0]
	v_add_f16_sdwa v30, v64, v4 dst_sel:DWORD dst_unused:UNUSED_PAD src0_sel:DWORD src1_sel:WORD_1
	v_add_f16_e32 v29, v57, v29
	v_mul_f16_sdwa v57, v40, v28 dst_sel:DWORD dst_unused:UNUSED_PAD src0_sel:WORD_1 src1_sel:DWORD
	v_pk_add_f16 v42, v7, v6
	v_add_f16_sdwa v9, v58, v9 dst_sel:DWORD dst_unused:UNUSED_PAD src0_sel:WORD_1 src1_sel:DWORD
	v_pk_fma_f16 v63, 0x394ebb7b, v23, v71 op_sel:[0,0,1] op_sel_hi:[1,1,0]
	v_pk_mul_f16 v28, 0xb9fd2fb7, v31
	v_pk_fma_f16 v70, 0xb3a8bbf1, v20, v69 op_sel:[0,0,1] op_sel_hi:[1,1,0] neg_lo:[0,1,0] neg_hi:[0,1,0]
	v_add_f16_e32 v30, v68, v30
	v_fmamk_f16 v35, v42, 0xbbc4, v57
	v_add_f16_sdwa v72, v63, v9 dst_sel:DWORD dst_unused:UNUSED_PAD src0_sel:WORD_1 src1_sel:DWORD
	v_pk_fma_f16 v65, 0x3bf1b94e, v26, v28 op_sel:[0,0,1] op_sel_hi:[1,1,0]
	v_pk_fma_f16 v71, 0x394ebb7b, v23, v71 op_sel:[0,0,1] op_sel_hi:[1,1,0] neg_lo:[0,1,0] neg_hi:[0,1,0]
	v_add_f16_e32 v30, v70, v30
	v_pk_mul_f16 v74, 0xbbc43b15, v42
	v_add_f16_e32 v9, v35, v8
	v_add_f16_sdwa v8, v65, v72 dst_sel:DWORD dst_unused:UNUSED_PAD src0_sel:WORD_1 src1_sel:DWORD
	v_lshrrev_b32_e32 v79, 16, v42
	v_mul_f16_e32 v75, 0x3770, v40
	v_mul_f16_e32 v77, 0xb94e, v40
	v_pk_fma_f16 v72, 0x3bf1b94e, v26, v28 op_sel:[0,0,1] op_sel_hi:[1,1,0] neg_lo:[0,1,0] neg_hi:[0,1,0]
	v_add_f16_e32 v28, v71, v30
	v_mul_f16_sdwa v76, v40, v83 dst_sel:DWORD dst_unused:UNUSED_PAD src0_sel:WORD_1 src1_sel:DWORD
	v_pk_fma_f16 v69, 0x3770b3a8, v40, v74 op_sel:[0,0,1] op_sel_hi:[1,1,0]
	v_fma_f16 v30, v79, 0x3b15, -v75
	v_fma_f16 v35, v79, 0xb9fd, -v77
	v_pk_fma_f16 v74, 0x3770b3a8, v40, v74 op_sel:[0,0,1] op_sel_hi:[1,1,0] neg_lo:[0,1,0] neg_hi:[0,1,0]
	v_add_f16_e32 v85, v72, v28
	v_fmamk_f16 v86, v42, 0xb9fd, v76
	v_add_f16_sdwa v8, v69, v8 dst_sel:DWORD dst_unused:UNUSED_PAD src0_sel:WORD_1 src1_sel:DWORD
	v_add_f16_e32 v28, v30, v84
	v_add_f16_e32 v30, v35, v29
	;; [unrolled: 1-line block ×4, first 2 shown]
	v_mul_lo_u16 v35, v37, 13
	s_barrier
	buffer_gl0_inv
	s_and_saveexec_b32 s4, vcc_lo
	s_cbranch_execz .LBB0_7
; %bb.6:
	v_mul_f16_e32 v84, 0xb5ac, v48
	v_mul_f16_sdwa v85, v17, v80 dst_sel:DWORD dst_unused:UNUSED_PAD src0_sel:WORD_1 src1_sel:DWORD
	v_mov_b32_e32 v86, 0x394e
	v_mul_f16_e32 v87, 0xb9fd, v52
	v_mul_f16_e32 v88, 0x3b15, v59
	v_fmamk_f16 v89, v17, 0x3b7b, v84
	v_fmamk_f16 v91, v19, 0xb5ac, v85
	v_mul_f16_sdwa v86, v18, v86 dst_sel:DWORD dst_unused:UNUSED_PAD src0_sel:WORD_1 src1_sel:DWORD
	v_fmamk_f16 v92, v18, 0xb94e, v87
	v_mul_f16_sdwa v90, v20, v82 dst_sel:DWORD dst_unused:UNUSED_PAD src0_sel:WORD_1 src1_sel:DWORD
	v_add_f16_sdwa v89, v89, v4 dst_sel:DWORD dst_unused:UNUSED_PAD src0_sel:DWORD src1_sel:WORD_1
	v_mul_f16_e32 v93, 0x2fb7, v62
	v_add_f16_e32 v91, v91, v4
	v_fmamk_f16 v94, v21, 0xb9fd, v86
	v_fmamk_f16 v95, v20, 0xb770, v88
	v_add_f16_e32 v89, v92, v89
	v_mul_f16_sdwa v81, v23, v81 dst_sel:DWORD dst_unused:UNUSED_PAD src0_sel:WORD_1 src1_sel:DWORD
	v_fmamk_f16 v92, v22, 0x3b15, v90
	v_add_f16_e32 v91, v94, v91
	v_fmamk_f16 v94, v23, 0x3bf1, v93
	v_add_f16_e32 v89, v95, v89
	v_mul_f16_e32 v95, 0xbbc4, v67
	v_fmamk_f16 v96, v24, 0x2fb7, v81
	v_add_f16_e32 v91, v92, v91
	v_mov_b32_e32 v92, 0x33a8
	v_add_f16_e32 v89, v94, v89
	v_fmamk_f16 v94, v26, 0xb3a8, v95
	v_mul_f16_e32 v97, 0xb9fd, v48
	v_add_f16_e32 v91, v96, v91
	v_mul_f16_sdwa v96, v26, v92 dst_sel:DWORD dst_unused:UNUSED_PAD src0_sel:WORD_1 src1_sel:DWORD
	v_mul_f16_e32 v99, 0x2fb7, v52
	v_add_f16_e32 v89, v94, v89
	v_fmamk_f16 v94, v17, 0x394e, v97
	v_mul_f16_sdwa v83, v17, v83 dst_sel:DWORD dst_unused:UNUSED_PAD src0_sel:WORD_1 src1_sel:DWORD
	v_fmamk_f16 v100, v31, 0xbbc4, v96
	v_fmamk_f16 v102, v18, 0xbbf1, v99
	v_mul_f16_e32 v104, 0xbbc4, v62
	v_add_f16_sdwa v94, v94, v4 dst_sel:DWORD dst_unused:UNUSED_PAD src0_sel:DWORD src1_sel:WORD_1
	v_fmamk_f16 v105, v19, 0xb9fd, v83
	v_add_f16_e32 v91, v100, v91
	v_mul_f16_e32 v100, 0x388b, v59
	v_fma_f16 v83, v19, 0xb9fd, -v83
	v_add_f16_e32 v94, v102, v94
	v_mov_b32_e32 v102, 0x3bf1
	v_mul_f16_e32 v106, 0x3b15, v67
	v_fmamk_f16 v103, v20, 0x3a95, v100
	v_add_f16_e32 v105, v105, v4
	v_mul_f16_sdwa v78, v20, v78 dst_sel:DWORD dst_unused:UNUSED_PAD src0_sel:WORD_1 src1_sel:DWORD
	v_mul_f16_sdwa v102, v18, v102 dst_sel:DWORD dst_unused:UNUSED_PAD src0_sel:WORD_1 src1_sel:DWORD
	v_add_f16_e32 v83, v83, v4
	v_add_f16_e32 v94, v103, v94
	v_fmamk_f16 v103, v23, 0xb3a8, v104
	v_mul_f16_e32 v108, 0xb5ac, v79
	v_fmamk_f16 v107, v21, 0x2fb7, v102
	v_fma_f16 v102, v21, 0x2fb7, -v102
	v_mul_f16_sdwa v92, v23, v92 dst_sel:DWORD dst_unused:UNUSED_PAD src0_sel:WORD_1 src1_sel:DWORD
	v_add_f16_e32 v94, v103, v94
	v_fmamk_f16 v103, v26, 0xb770, v106
	v_add_f16_e32 v105, v107, v105
	v_fmamk_f16 v107, v22, 0x388b, v78
	v_add_f16_e32 v83, v102, v83
	v_fma_f16 v78, v22, 0x388b, -v78
	v_add_f16_e32 v94, v103, v94
	v_fmamk_f16 v103, v40, 0x3b7b, v108
	v_add_f16_e32 v105, v107, v105
	v_fmamk_f16 v107, v24, 0xbbc4, v92
	v_mul_f16_sdwa v82, v26, v82 dst_sel:DWORD dst_unused:UNUSED_PAD src0_sel:WORD_1 src1_sel:DWORD
	v_add_f16_e32 v78, v78, v83
	v_fma_f16 v83, v24, 0xbbc4, -v92
	v_add_f16_e32 v94, v103, v94
	v_add_f16_e32 v103, v107, v105
	v_fmamk_f16 v105, v31, 0x3b15, v82
	v_mul_f16_sdwa v80, v40, v80 dst_sel:DWORD dst_unused:UNUSED_PAD src0_sel:WORD_1 src1_sel:DWORD
	v_add_f16_e32 v78, v83, v78
	v_fma_f16 v82, v31, 0x3b15, -v82
	v_fmac_f16_e32 v84, 0xbb7b, v17
	v_add_f16_e32 v103, v105, v103
	v_fmamk_f16 v105, v42, 0xb5ac, v80
	v_fma_f16 v80, v42, 0xb5ac, -v80
	v_add_f16_e32 v78, v82, v78
	v_fma_f16 v82, v19, 0xb5ac, -v85
	v_alignbit_b32 v85, v4, v4, 16
	v_add_f16_sdwa v84, v84, v4 dst_sel:DWORD dst_unused:UNUSED_PAD src0_sel:DWORD src1_sel:WORD_1
	v_fmac_f16_e32 v87, 0x394e, v18
	v_add_f16_e32 v78, v80, v78
	v_add_f16_e32 v80, v82, v4
	v_fma_f16 v82, v21, 0xb9fd, -v86
	v_pk_add_f16 v5, v5, v85 op_sel:[0,1] op_sel_hi:[1,0]
	v_add_f16_e32 v84, v87, v84
	v_fmac_f16_e32 v88, 0x3770, v20
	v_mul_f16_e32 v87, 0x388b, v48
	v_add_f16_e32 v80, v82, v80
	v_fma_f16 v82, v22, 0x3b15, -v90
	v_mul_f16_e32 v48, 0x2fb7, v48
	v_pk_add_f16 v5, v14, v5
	v_add_f16_e32 v84, v88, v84
	v_mul_f16_e32 v86, 0x3b15, v19
	v_mul_f16_e32 v88, 0x2fb7, v19
	v_add_f16_e32 v80, v82, v80
	v_fma_f16 v81, v24, 0x2fb7, -v81
	v_add_f16_e32 v45, v45, v48
	v_mul_f16_e32 v48, 0xb5ac, v52
	v_mul_f16_e32 v52, 0xbbc4, v52
	v_add_f16_e32 v34, v34, v87
	v_pk_add_f16 v5, v15, v5
	v_fmac_f16_e32 v97, 0xb94e, v17
	v_mul_f16_e32 v82, 0x388b, v21
	v_add_f16_e32 v80, v81, v80
	v_fma_f16 v81, v31, 0xbbc4, -v96
	v_add_f16_e32 v51, v51, v52
	v_mul_f16_e32 v52, 0xb5ac, v59
	v_mul_f16_e32 v59, 0xbbc4, v59
	v_sub_f16_e32 v41, v88, v41
	v_add_f16_e32 v43, v43, v48
	v_add_f16_sdwa v34, v34, v4 dst_sel:DWORD dst_unused:UNUSED_PAD src0_sel:DWORD src1_sel:WORD_1
	v_sub_f16_e32 v25, v86, v25
	v_pk_add_f16 v5, v12, v5
	v_add_f16_sdwa v97, v97, v4 dst_sel:DWORD dst_unused:UNUSED_PAD src0_sel:DWORD src1_sel:WORD_1
	v_add_f16_sdwa v45, v45, v4 dst_sel:DWORD dst_unused:UNUSED_PAD src0_sel:DWORD src1_sel:WORD_1
	v_add_f16_e32 v80, v81, v80
	v_mul_f16_e32 v81, 0x2fb7, v22
	v_mul_f16_e32 v88, 0xb9fd, v62
	;; [unrolled: 1-line block ×3, first 2 shown]
	v_add_f16_e32 v41, v41, v4
	v_add_f16_e32 v34, v43, v34
	;; [unrolled: 1-line block ×4, first 2 shown]
	v_sub_f16_e32 v25, v82, v32
	v_pk_add_f16 v5, v13, v5
	v_add_f16_e32 v45, v51, v45
	v_add_f16_e32 v52, v60, v52
	v_mul_f16_e32 v60, 0xb5ac, v24
	v_add_f16_e32 v61, v61, v62
	v_mul_f16_e32 v62, 0x2fb7, v67
	v_add_f16_e32 v34, v43, v34
	v_add_f16_e32 v43, v46, v88
	;; [unrolled: 1-line block ×3, first 2 shown]
	v_sub_f16_e32 v12, v81, v33
	v_pk_add_f16 v5, v6, v5
	v_mul_f16_e32 v51, 0xb5ac, v22
	v_add_f16_e32 v45, v52, v45
	v_mul_f16_e32 v52, 0xb9fd, v31
	v_mul_f16_e32 v87, 0x3b15, v79
	v_add_f16_e32 v14, v43, v34
	v_add_f16_e32 v34, v50, v62
	;; [unrolled: 1-line block ×3, first 2 shown]
	v_sub_f16_e32 v12, v60, v36
	v_pk_add_f16 v5, v7, v5
	v_sub_f16_e32 v51, v51, v55
	v_mul_f16_e32 v55, 0xbbc4, v42
	v_add_f16_e32 v14, v34, v14
	v_add_f16_e32 v32, v75, v87
	v_bfi_b32 v13, 0xffff, v53, v64
	v_add_f16_e32 v4, v12, v4
	v_sub_f16_e32 v12, v52, v44
	v_pk_add_f16 v2, v2, v5
	v_mul_f16_e32 v90, 0xbbc4, v21
	v_add_f16_e32 v14, v32, v14
	v_bfi_b32 v32, 0xffff, v54, v68
	v_add_f16_e32 v4, v12, v4
	v_sub_f16_e32 v12, v55, v57
	v_and_b32_e32 v5, 0xffff, v35
	v_pk_add_f16 v13, v13, v85
	v_pk_mul_f16 v19, 0xbbc4, v19 op_sel_hi:[0,1]
	v_pk_add_f16 v2, v3, v2
	v_mul_f16_e32 v98, 0x388b, v79
	v_fmac_f16_e32 v99, 0x3bf1, v18
	v_sub_f16_e32 v47, v90, v47
	v_bfi_b32 v6, 0xffff, v58, v70
	v_add_f16_e32 v4, v12, v4
	v_add_lshl_u32 v3, v27, v5, 2
	v_pk_add_f16 v5, v32, v13
	v_pk_fma_f16 v12, 0xb3a8, v17, v19 op_sel:[0,0,1] op_sel_hi:[0,1,0] neg_lo:[0,1,0] neg_hi:[0,1,0]
	v_pk_mul_f16 v13, 0x3b15, v21 op_sel_hi:[0,1]
	v_pk_add_f16 v0, v0, v2
	v_pk_fma_f16 v2, 0xb3a8, v17, v19 op_sel:[0,0,1] op_sel_hi:[0,1,0]
	v_fmamk_f16 v101, v40, 0xba95, v98
	v_add_f16_e32 v97, v99, v97
	v_fmac_f16_e32 v100, 0xba95, v20
	v_mul_f16_e32 v90, 0x3b15, v24
	v_add_f16_e32 v41, v47, v41
	v_bfi_b32 v33, 0xffff, v63, v71
	v_pk_add_f16 v5, v6, v5
	v_pk_add_f16 v6, v12, v85
	v_pk_fma_f16 v12, 0x3770, v18, v13 op_sel:[0,0,1] op_sel_hi:[0,1,0] neg_lo:[0,1,0] neg_hi:[0,1,0]
	v_pk_mul_f16 v17, 0xb9fd, v22 op_sel_hi:[0,1]
	v_pk_add_f16 v2, v2, v85
	v_pk_fma_f16 v13, 0x3770, v18, v13 op_sel:[0,0,1] op_sel_hi:[0,1,0]
	v_add_f16_e32 v89, v101, v89
	v_mov_b32_e32 v101, 0x3a95
	v_add_f16_e32 v97, v100, v97
	v_fmac_f16_e32 v104, 0x33a8, v23
	v_fmac_f16_e32 v93, 0xbbf1, v23
	v_mul_f16_e32 v47, 0x388b, v31
	v_mul_f16_e32 v67, 0x388b, v67
	v_add_f16_e32 v41, v51, v41
	v_sub_f16_e32 v51, v90, v56
	v_bfi_b32 v7, 0xffff, v65, v72
	v_pk_add_f16 v5, v33, v5
	v_pk_add_f16 v6, v12, v6
	v_pk_fma_f16 v12, 0xb94e, v20, v17 op_sel:[0,0,1] op_sel_hi:[0,1,0] neg_lo:[0,1,0] neg_hi:[0,1,0]
	v_pk_mul_f16 v18, 0x388b, v24 op_sel_hi:[0,1]
	v_pk_add_f16 v2, v13, v2
	v_pk_fma_f16 v13, 0xb94e, v20, v17 op_sel:[0,0,1] op_sel_hi:[0,1,0]
	v_mul_f16_sdwa v101, v40, v101 dst_sel:DWORD dst_unused:UNUSED_PAD src0_sel:WORD_1 src1_sel:DWORD
	v_add_f16_e32 v92, v104, v97
	v_fmac_f16_e32 v106, 0x3770, v26
	v_add_f16_e32 v84, v93, v84
	v_fmac_f16_e32 v95, 0x33a8, v26
	v_mul_f16_e32 v48, 0xb9fd, v42
	v_mul_f16_e32 v79, 0xb9fd, v79
	v_add_f16_e32 v45, v61, v45
	v_add_f16_e32 v61, v73, v67
	;; [unrolled: 1-line block ×3, first 2 shown]
	v_sub_f16_e32 v47, v47, v66
	v_pk_add_f16 v5, v7, v5
	v_pk_add_f16 v6, v12, v6
	v_pk_fma_f16 v7, 0x3a95, v23, v18 op_sel:[0,0,1] op_sel_hi:[0,1,0] neg_lo:[0,1,0] neg_hi:[0,1,0]
	v_pk_mul_f16 v12, 0xb5ac, v31 op_sel_hi:[0,1]
	v_pk_add_f16 v2, v13, v2
	v_pk_fma_f16 v13, 0x3a95, v23, v18 op_sel:[0,0,1] op_sel_hi:[0,1,0]
	v_bfi_b32 v34, 0xffff, v69, v74
	v_add_f16_e32 v83, v106, v92
	v_add_f16_e32 v84, v95, v84
	v_fmac_f16_e32 v98, 0x3a95, v40
	v_fma_f16 v92, v42, 0x388b, -v101
	v_add_f16_e32 v45, v61, v45
	v_add_f16_e32 v46, v77, v79
	;; [unrolled: 1-line block ×3, first 2 shown]
	v_sub_f16_e32 v15, v48, v76
	v_pk_add_f16 v6, v7, v6
	v_pk_fma_f16 v7, 0xbb7b, v26, v12 op_sel:[0,0,1] op_sel_hi:[0,1,0] neg_lo:[0,1,0] neg_hi:[0,1,0]
	v_pk_mul_f16 v17, 0x2fb7, v42 op_sel_hi:[0,1]
	v_pk_add_f16 v2, v13, v2
	v_pk_fma_f16 v12, 0xbb7b, v26, v12 op_sel:[0,0,1] op_sel_hi:[0,1,0]
	v_fmac_f16_e32 v108, 0xbb7b, v40
	v_pk_add_f16 v5, v34, v5
	v_add_f16_e32 v84, v98, v84
	v_add_f16_e32 v49, v92, v80
	;; [unrolled: 1-line block ×4, first 2 shown]
	v_pk_add_f16 v6, v7, v6
	v_pk_fma_f16 v7, 0x3bf1, v40, v17 op_sel:[0,0,1] op_sel_hi:[0,1,0] neg_lo:[0,1,0] neg_hi:[0,1,0]
	v_pk_add_f16 v2, v12, v2
	v_pk_fma_f16 v12, 0x3bf1, v40, v17 op_sel:[0,0,1] op_sel_hi:[0,1,0]
	v_fmamk_f16 v109, v42, 0x388b, v101
	v_add_f16_e32 v83, v108, v83
	v_pk_add_f16 v0, v1, v0
	v_alignbit_b32 v1, v14, v5, 16
	v_pack_b32_f16 v4, v4, v5
	v_pack_b32_f16 v5, v15, v25
	;; [unrolled: 1-line block ×3, first 2 shown]
	v_pk_add_f16 v6, v7, v6
	v_pk_add_f16 v2, v12, v2
	v_add_f16_e32 v91, v109, v91
	v_add_f16_e32 v99, v105, v103
	v_pk_add_f16 v0, v10, v0
	ds_write2_b32 v3, v4, v1 offset0:1 offset1:2
	ds_write2_b32 v3, v5, v13 offset0:3 offset1:4
	v_pack_b32_f16 v1, v78, v83
	v_alignbit_b32 v4, v6, v2, 16
	v_alignbit_b32 v2, v2, v6, 16
	v_pack_b32_f16 v5, v91, v89
	v_pack_b32_f16 v6, v99, v94
	v_perm_b32 v7, v28, v8, 0x5040100
	v_perm_b32 v10, v30, v11, 0x5040100
	;; [unrolled: 1-line block ×3, first 2 shown]
	ds_write2_b32 v3, v0, v1 offset1:5
	ds_write2_b32 v3, v2, v4 offset0:6 offset1:7
	ds_write2_b32 v3, v6, v5 offset0:8 offset1:9
	;; [unrolled: 1-line block ×3, first 2 shown]
	ds_write_b32 v3, v12 offset:48
.LBB0_7:
	s_or_b32 exec_lo, exec_lo, s4
	v_and_b32_e32 v0, 0xff, v37
	s_load_dwordx4 s[4:7], s[0:1], 0x0
	v_add_co_u32 v25, s0, 0x5b, v37
	v_add_co_u32 v2, null, 0xb6, v37
	v_mul_lo_u16 v1, 0x4f, v0
	v_and_b32_e32 v0, 0xff, v25
	v_mov_b32_e32 v4, 0x4ec5
	v_add_co_u32 v3, null, 0x111, v37
	v_lshrrev_b16 v10, 10, v1
	v_mul_lo_u16 v0, 0x4f, v0
	v_add_co_u32 v6, null, 0x16c, v37
	v_mul_u32_u24_sdwa v7, v2, v4 dst_sel:DWORD dst_unused:UNUSED_PAD src0_sel:WORD_0 src1_sel:DWORD
	v_mul_lo_u16 v5, v10, 13
	v_lshrrev_b16 v20, 10, v0
	s_waitcnt lgkmcnt(0)
	s_barrier
	v_lshrrev_b32_e32 v21, 18, v7
	v_sub_nc_u16 v19, v37, v5
	v_mul_u32_u24_sdwa v5, v3, v4 dst_sel:DWORD dst_unused:UNUSED_PAD src0_sel:WORD_0 src1_sel:DWORD
	v_mul_u32_u24_sdwa v4, v6, v4 dst_sel:DWORD dst_unused:UNUSED_PAD src0_sel:WORD_0 src1_sel:DWORD
	v_mov_b32_e32 v7, 2
	buffer_gl0_inv
	v_add_lshl_u32 v41, v27, v37, 2
	v_lshrrev_b32_e32 v22, 18, v5
	v_mul_lo_u16 v5, v20, 13
	v_lshrrev_b32_e32 v23, 18, v4
	v_mul_lo_u16 v4, v21, 13
	v_lshlrev_b32_sdwa v12, v7, v19 dst_sel:DWORD dst_unused:UNUSED_PAD src0_sel:DWORD src1_sel:BYTE_0
	v_mul_lo_u16 v13, v22, 13
	v_sub_nc_u16 v24, v25, v5
	v_mul_lo_u16 v5, v23, 13
	v_sub_nc_u16 v31, v2, v4
	global_load_dword v45, v12, s[2:3]
	v_sub_nc_u16 v32, v3, v13
	v_lshlrev_b32_sdwa v2, v7, v24 dst_sel:DWORD dst_unused:UNUSED_PAD src0_sel:DWORD src1_sel:BYTE_0
	v_sub_nc_u16 v33, v6, v5
	v_lshlrev_b32_sdwa v3, v7, v31 dst_sel:DWORD dst_unused:UNUSED_PAD src0_sel:DWORD src1_sel:WORD_0
	v_add_nc_u32_e32 v14, 0x200, v41
	v_lshlrev_b32_sdwa v4, v7, v32 dst_sel:DWORD dst_unused:UNUSED_PAD src0_sel:DWORD src1_sel:WORD_0
	global_load_dword v47, v2, s[2:3]
	v_lshlrev_b32_sdwa v2, v7, v33 dst_sel:DWORD dst_unused:UNUSED_PAD src0_sel:DWORD src1_sel:WORD_0
	s_clause 0x2
	global_load_dword v48, v3, s[2:3]
	global_load_dword v46, v4, s[2:3]
	;; [unrolled: 1-line block ×3, first 2 shown]
	v_add_nc_u32_e32 v3, 0x400, v41
	v_add_nc_u32_e32 v2, 0x800, v41
	;; [unrolled: 1-line block ×3, first 2 shown]
	ds_read2_b32 v[4:5], v41 offset1:91
	ds_read2_b32 v[6:7], v3 offset0:108 offset1:199
	ds_read2_b32 v[12:13], v2 offset0:34 offset1:125
	ds_read2_b32 v[14:15], v14 offset0:54 offset1:145
	ds_read2_b32 v[17:18], v17 offset0:88 offset1:179
	v_mov_b32_e32 v34, 26
	s_waitcnt vmcnt(0) lgkmcnt(0)
	s_barrier
	buffer_gl0_inv
	v_add_co_ci_u32_e64 v26, null, 0, 0, s0
	v_mul_u32_u24_sdwa v10, v10, v34 dst_sel:DWORD dst_unused:UNUSED_PAD src0_sel:WORD_0 src1_sel:DWORD
	v_mul_u32_u24_sdwa v20, v20, v34 dst_sel:DWORD dst_unused:UNUSED_PAD src0_sel:WORD_0 src1_sel:DWORD
	v_cmp_gt_u16_e64 s0, 39, v37
	v_add_nc_u32_sdwa v10, v10, v19 dst_sel:DWORD dst_unused:UNUSED_PAD src0_sel:DWORD src1_sel:BYTE_0
	v_mad_u16 v19, v21, 26, v31
	v_mad_u16 v21, v22, 26, v32
	;; [unrolled: 1-line block ×3, first 2 shown]
	v_lshrrev_b32_e32 v23, 16, v7
	v_add_lshl_u32 v49, v27, v10, 2
	v_add_nc_u32_sdwa v10, v20, v24 dst_sel:DWORD dst_unused:UNUSED_PAD src0_sel:DWORD src1_sel:BYTE_0
	v_lshrrev_b32_e32 v31, 16, v12
	v_and_b32_e32 v19, 0xffff, v19
	v_lshrrev_b32_e32 v32, 16, v13
	v_and_b32_e32 v20, 0xffff, v21
	v_add_lshl_u32 v50, v27, v10, 2
	v_and_b32_e32 v21, 0xffff, v22
	v_lshrrev_b32_e32 v42, 16, v17
	v_lshrrev_b32_e32 v54, 16, v18
	v_add_lshl_u32 v51, v27, v19, 2
	v_add_lshl_u32 v52, v27, v20, 2
	;; [unrolled: 1-line block ×3, first 2 shown]
	v_lshrrev_b32_e32 v34, 16, v4
	v_lshrrev_b32_e32 v36, 16, v5
	;; [unrolled: 1-line block ×5, first 2 shown]
	v_mul_f16_sdwa v10, v23, v45 dst_sel:DWORD dst_unused:UNUSED_PAD src0_sel:DWORD src1_sel:WORD_1
	v_mul_f16_sdwa v22, v7, v45 dst_sel:DWORD dst_unused:UNUSED_PAD src0_sel:DWORD src1_sel:WORD_1
	v_fma_f16 v7, v7, v45, -v10
	v_fmac_f16_e32 v22, v23, v45
	v_mul_f16_sdwa v10, v31, v47 dst_sel:DWORD dst_unused:UNUSED_PAD src0_sel:DWORD src1_sel:WORD_1
	v_mul_f16_sdwa v19, v12, v47 dst_sel:DWORD dst_unused:UNUSED_PAD src0_sel:DWORD src1_sel:WORD_1
	;; [unrolled: 1-line block ×8, first 2 shown]
	v_fma_f16 v10, v12, v47, -v10
	v_fmac_f16_e32 v19, v31, v47
	v_fma_f16 v12, v13, v48, -v20
	v_fmac_f16_e32 v21, v32, v48
	;; [unrolled: 2-line block ×4, first 2 shown]
	v_sub_f16_e32 v7, v4, v7
	v_sub_f16_e32 v17, v34, v22
	;; [unrolled: 1-line block ×10, first 2 shown]
	v_fma_f16 v4, v4, 2.0, -v7
	v_fma_f16 v20, v34, 2.0, -v17
	v_pack_b32_f16 v7, v7, v17
	v_fma_f16 v5, v5, 2.0, -v22
	v_fma_f16 v17, v36, 2.0, -v19
	;; [unrolled: 1-line block ×8, first 2 shown]
	v_pack_b32_f16 v4, v4, v20
	v_pack_b32_f16 v6, v22, v19
	;; [unrolled: 1-line block ×9, first 2 shown]
	ds_write2_b32 v49, v4, v7 offset1:13
	ds_write2_b32 v50, v5, v6 offset1:13
	;; [unrolled: 1-line block ×5, first 2 shown]
	s_waitcnt lgkmcnt(0)
	s_barrier
	buffer_gl0_inv
	ds_read2_b32 v[14:15], v41 offset1:130
	ds_read2_b32 v[23:24], v3 offset0:4 offset1:134
	ds_read2_b32 v[21:22], v2 offset0:8 offset1:138
	ds_read_b32 v34, v41 offset:3120
                                        ; implicit-def: $vgpr36
                                        ; implicit-def: $vgpr40
	s_and_saveexec_b32 s1, s0
	s_cbranch_execz .LBB0_9
; %bb.8:
	ds_read2_b32 v[12:13], v41 offset0:91 offset1:221
	ds_read2_b32 v[10:11], v3 offset0:95 offset1:225
	;; [unrolled: 1-line block ×3, first 2 shown]
	ds_read_b32 v36, v41 offset:3484
	s_waitcnt lgkmcnt(3)
	v_lshrrev_b32_e32 v31, 16, v12
	v_lshrrev_b32_e32 v33, 16, v13
	s_waitcnt lgkmcnt(2)
	v_lshrrev_b32_e32 v32, 16, v10
	v_lshrrev_b32_e32 v30, 16, v11
	;; [unrolled: 3-line block ×3, first 2 shown]
	s_waitcnt lgkmcnt(0)
	v_lshrrev_b32_e32 v40, 16, v36
.LBB0_9:
	s_or_b32 exec_lo, exec_lo, s1
	v_lshrrev_b16 v54, 11, v1
	v_lshrrev_b16 v42, 11, v0
	v_mov_b32_e32 v60, 0xb6
	s_waitcnt lgkmcnt(3)
	v_lshrrev_b32_e32 v56, 16, v15
	s_waitcnt lgkmcnt(2)
	v_lshrrev_b32_e32 v57, 16, v23
	v_mul_lo_u16 v1, v54, 26
	v_mul_lo_u16 v2, v42, 26
	v_mul_u32_u24_sdwa v54, v54, v60 dst_sel:DWORD dst_unused:UNUSED_PAD src0_sel:WORD_0 src1_sel:DWORD
	s_waitcnt lgkmcnt(1)
	v_lshrrev_b32_e32 v59, 16, v22
	s_waitcnt lgkmcnt(0)
	v_lshrrev_b32_e32 v61, 16, v34
	v_sub_nc_u16 v1, v37, v1
	v_sub_nc_u16 v2, v25, v2
	v_lshrrev_b32_e32 v58, 16, v21
	v_and_b32_e32 v55, 0xff, v1
	v_and_b32_e32 v43, 0xff, v2
	v_mad_u64_u32 v[0:1], null, v55, 24, s[2:3]
	v_mad_u64_u32 v[17:18], null, v43, 24, s[2:3]
	v_add_nc_u32_e32 v54, v54, v55
	v_lshrrev_b32_e32 v55, 16, v24
	s_clause 0x3
	global_load_dwordx4 v[4:7], v[0:1], off offset:52
	global_load_dwordx2 v[19:20], v[0:1], off offset:68
	global_load_dwordx4 v[0:3], v[17:18], off offset:52
	global_load_dwordx2 v[17:18], v[17:18], off offset:68
	v_add_lshl_u32 v54, v27, v54, 2
	s_waitcnt vmcnt(0)
	s_barrier
	buffer_gl0_inv
	v_mul_f16_sdwa v70, v59, v19 dst_sel:DWORD dst_unused:UNUSED_PAD src0_sel:DWORD src1_sel:WORD_1
	v_mul_f16_sdwa v62, v56, v4 dst_sel:DWORD dst_unused:UNUSED_PAD src0_sel:DWORD src1_sel:WORD_1
	;; [unrolled: 1-line block ×24, first 2 shown]
	v_fma_f16 v15, v15, v4, -v62
	v_fmac_f16_e32 v63, v56, v4
	v_fma_f16 v23, v23, v5, -v64
	v_fmac_f16_e32 v65, v57, v5
	;; [unrolled: 2-line block ×12, first 2 shown]
	v_add_f16_e32 v29, v15, v34
	v_add_f16_e32 v30, v63, v73
	v_sub_f16_e32 v15, v15, v34
	v_add_f16_e32 v33, v23, v22
	v_add_f16_e32 v34, v65, v71
	v_sub_f16_e32 v32, v63, v73
	v_sub_f16_e32 v22, v23, v22
	;; [unrolled: 1-line block ×3, first 2 shown]
	v_add_f16_e32 v36, v24, v21
	v_add_f16_e32 v40, v67, v69
	v_sub_f16_e32 v21, v21, v24
	v_sub_f16_e32 v24, v69, v67
	v_add_f16_e32 v55, v13, v28
	v_add_f16_e32 v56, v75, v85
	;; [unrolled: 1-line block ×4, first 2 shown]
	v_sub_f16_e32 v9, v10, v9
	v_add_f16_e32 v59, v11, v8
	v_sub_f16_e32 v8, v8, v11
	v_add_f16_e32 v62, v33, v29
	v_add_f16_e32 v63, v34, v30
	v_sub_f16_e32 v13, v13, v28
	v_add_f16_e32 v61, v79, v81
	v_sub_f16_e32 v28, v75, v85
	v_sub_f16_e32 v10, v77, v83
	;; [unrolled: 1-line block ×9, first 2 shown]
	v_add_f16_e32 v66, v21, v22
	v_add_f16_e32 v67, v24, v23
	v_sub_f16_e32 v68, v21, v22
	v_sub_f16_e32 v69, v24, v23
	;; [unrolled: 1-line block ×3, first 2 shown]
	v_add_f16_e32 v70, v57, v55
	v_add_f16_e32 v71, v58, v56
	;; [unrolled: 1-line block ×5, first 2 shown]
	v_sub_f16_e32 v22, v22, v15
	v_sub_f16_e32 v72, v57, v55
	;; [unrolled: 1-line block ×11, first 2 shown]
	v_add_f16_e32 v75, v11, v10
	v_sub_f16_e32 v77, v11, v10
	v_sub_f16_e32 v78, v13, v8
	;; [unrolled: 1-line block ×4, first 2 shown]
	v_add_f16_e32 v15, v66, v15
	v_mul_f16_e32 v8, 0x3a52, v29
	v_mul_f16_e32 v9, 0x3a52, v30
	v_mul_f16_e32 v10, 0x2b26, v33
	v_mul_f16_e32 v11, 0x2b26, v34
	v_mul_f16_e32 v29, 0xb846, v68
	v_mul_f16_e32 v30, 0xb846, v69
	v_mul_f16_e32 v63, 0x3b00, v23
	v_add_f16_e32 v59, v59, v70
	v_add_f16_e32 v61, v61, v71
	v_add_f16_e32 v66, v74, v13
	v_add_f16_e32 v74, v14, v36
	v_add_f16_sdwa v14, v14, v40 dst_sel:DWORD dst_unused:UNUSED_PAD src0_sel:WORD_1 src1_sel:DWORD
	v_mul_f16_e32 v62, 0x3b00, v22
	v_mul_f16_e32 v13, 0x3a52, v55
	;; [unrolled: 1-line block ×5, first 2 shown]
	v_add_f16_e32 v32, v67, v32
	v_add_f16_e32 v28, v75, v28
	v_mul_f16_e32 v56, 0x2b26, v57
	v_mul_f16_e32 v67, 0x2b26, v58
	;; [unrolled: 1-line block ×4, first 2 shown]
	v_fmamk_f16 v33, v33, 0x2b26, v8
	v_fmamk_f16 v34, v34, 0x2b26, v9
	v_fma_f16 v75, v64, 0x39e0, -v10
	v_fma_f16 v76, v65, 0x39e0, -v11
	;; [unrolled: 1-line block ×4, first 2 shown]
	v_fmamk_f16 v77, v21, 0x3574, v29
	v_fmamk_f16 v82, v24, 0x3574, v30
	v_fma_f16 v22, v22, 0x3b00, -v29
	v_fma_f16 v29, v23, 0x3b00, -v30
	;; [unrolled: 1-line block ×3, first 2 shown]
	v_add_f16_e32 v8, v12, v59
	v_add_f16_e32 v9, v31, v61
	v_fmamk_f16 v36, v36, 0xbcab, v74
	v_fmamk_f16 v40, v40, 0xbcab, v14
	v_fma_f16 v21, v21, 0xb574, -v62
	v_fmamk_f16 v30, v58, 0x2b26, v55
	v_fmamk_f16 v10, v78, 0x3574, v68
	v_fma_f16 v58, v80, 0x3b00, -v68
	v_fma_f16 v12, v78, 0xb574, -v70
	v_fmamk_f16 v23, v57, 0x2b26, v13
	v_fma_f16 v31, v72, 0x39e0, -v56
	v_fma_f16 v56, v73, 0x39e0, -v67
	v_fma_f16 v57, v72, 0xb9e0, -v13
	v_fma_f16 v55, v73, 0xb9e0, -v55
	v_fmamk_f16 v11, v79, 0x3574, v69
	v_fma_f16 v62, v81, 0x3b00, -v69
	v_fma_f16 v13, v79, 0xb574, -v71
	v_fmac_f16_e32 v77, 0x370e, v15
	v_fmac_f16_e32 v82, 0x370e, v32
	;; [unrolled: 1-line block ×4, first 2 shown]
	v_fmamk_f16 v32, v59, 0xbcab, v8
	v_fmamk_f16 v59, v61, 0xbcab, v9
	v_add_f16_e32 v33, v33, v36
	v_add_f16_e32 v34, v34, v40
	v_fmac_f16_e32 v22, 0x370e, v15
	v_fmac_f16_e32 v21, 0x370e, v15
	;; [unrolled: 1-line block ×5, first 2 shown]
	v_add_f16_e32 v63, v75, v36
	v_add_f16_e32 v66, v76, v40
	;; [unrolled: 1-line block ×4, first 2 shown]
	v_fmac_f16_e32 v11, 0x370e, v28
	v_fmac_f16_e32 v62, 0x370e, v28
	;; [unrolled: 1-line block ×3, first 2 shown]
	v_pack_b32_f16 v61, v74, v14
	v_add_f16_e32 v14, v23, v32
	v_add_f16_e32 v15, v30, v59
	;; [unrolled: 1-line block ×7, first 2 shown]
	v_sub_f16_e32 v56, v34, v77
	v_add_f16_e32 v64, v24, v36
	v_sub_f16_e32 v65, v40, v21
	v_sub_f16_e32 v67, v63, v29
	v_add_f16_e32 v68, v22, v66
	v_add_f16_e32 v29, v29, v63
	v_sub_f16_e32 v63, v66, v22
	v_sub_f16_e32 v36, v36, v24
	v_add_f16_e32 v40, v21, v40
	v_sub_f16_e32 v33, v33, v82
	v_add_f16_e32 v34, v77, v34
	;; [unrolled: 2-line block ×3, first 2 shown]
	v_add_f16_e32 v21, v62, v30
	v_sub_f16_e32 v58, v31, v58
	v_sub_f16_e32 v22, v23, v13
	v_add_f16_e32 v57, v12, v28
	v_sub_f16_e32 v55, v14, v11
	v_pack_b32_f16 v30, v32, v56
	v_add_f16_e32 v56, v10, v15
	v_pack_b32_f16 v31, v64, v65
	v_pack_b32_f16 v32, v67, v68
	;; [unrolled: 1-line block ×5, first 2 shown]
	ds_write2_b32 v54, v61, v30 offset1:26
	ds_write2_b32 v54, v31, v32 offset0:52 offset1:78
	ds_write2_b32 v54, v29, v36 offset0:104 offset1:130
	ds_write_b32 v54, v33 offset:624
	s_and_saveexec_b32 s1, s0
	s_cbranch_execz .LBB0_11
; %bb.10:
	v_mul_u32_u24_sdwa v29, v42, v60 dst_sel:DWORD dst_unused:UNUSED_PAD src0_sel:WORD_0 src1_sel:DWORD
	v_sub_f16_e32 v10, v15, v10
	v_add_f16_e32 v11, v11, v14
	v_sub_f16_e32 v12, v28, v12
	v_add_f16_e32 v13, v13, v23
	v_add_nc_u32_e32 v14, v29, v43
	v_perm_b32 v8, v9, v8, 0x5040100
	v_pack_b32_f16 v10, v11, v10
	v_perm_b32 v9, v59, v24, 0x5040100
	v_pack_b32_f16 v12, v13, v12
	v_add_lshl_u32 v11, v27, v14, 2
	v_perm_b32 v15, v58, v21, 0x5040100
	v_perm_b32 v13, v57, v22, 0x5040100
	;; [unrolled: 1-line block ×3, first 2 shown]
	ds_write2_b32 v11, v8, v10 offset1:26
	ds_write2_b32 v11, v12, v9 offset0:52 offset1:78
	ds_write2_b32 v11, v15, v13 offset0:104 offset1:130
	ds_write_b32 v11, v14 offset:624
.LBB0_11:
	s_or_b32 exec_lo, exec_lo, s1
	v_lshlrev_b32_e32 v8, 4, v37
	s_waitcnt lgkmcnt(0)
	s_barrier
	buffer_gl0_inv
	v_add_nc_u32_e32 v23, 0x200, v41
	global_load_dwordx4 v[12:15], v8, s[2:3] offset:676
	v_lshlrev_b64 v[8:9], 4, v[25:26]
	v_add_nc_u32_e32 v29, 0x400, v41
	v_add_nc_u32_e32 v31, 0x800, v41
	v_add_nc_u32_e32 v33, 0xa00, v41
	ds_read2_b32 v[25:26], v41 offset1:91
	v_lshl_add_u32 v40, v37, 2, v39
	v_add_co_u32 v8, s1, s2, v8
	v_add_co_ci_u32_e64 v9, s1, s3, v9, s1
	v_add_nc_u32_e32 v34, 0x600, v40
	v_add_nc_u32_e32 v36, 0x800, v40
	global_load_dwordx4 v[8:11], v[8:9], off offset:676
	ds_read2_b32 v[27:28], v23 offset0:54 offset1:145
	ds_read2_b32 v[29:30], v29 offset0:108 offset1:199
	;; [unrolled: 1-line block ×4, first 2 shown]
	v_add_nc_u32_e32 v33, 0x400, v40
	s_waitcnt lgkmcnt(4)
	v_lshrrev_b32_e32 v61, 16, v25
	v_lshrrev_b32_e32 v60, 16, v26
	s_waitcnt lgkmcnt(3)
	v_lshrrev_b32_e32 v23, 16, v27
	s_waitcnt lgkmcnt(2)
	;; [unrolled: 2-line block ×4, first 2 shown]
	v_lshrrev_b32_e32 v66, 16, v62
	v_lshrrev_b32_e32 v67, 16, v28
	;; [unrolled: 1-line block ×5, first 2 shown]
	s_waitcnt vmcnt(1)
	v_mul_f16_sdwa v71, v23, v12 dst_sel:DWORD dst_unused:UNUSED_PAD src0_sel:DWORD src1_sel:WORD_1
	v_mul_f16_sdwa v72, v27, v12 dst_sel:DWORD dst_unused:UNUSED_PAD src0_sel:DWORD src1_sel:WORD_1
	;; [unrolled: 1-line block ×8, first 2 shown]
	v_fma_f16 v27, v27, v12, -v71
	v_fmac_f16_e32 v72, v23, v12
	v_fma_f16 v23, v29, v13, -v73
	v_fmac_f16_e32 v74, v64, v13
	;; [unrolled: 2-line block ×4, first 2 shown]
	s_waitcnt vmcnt(0)
	v_mul_f16_sdwa v62, v67, v8 dst_sel:DWORD dst_unused:UNUSED_PAD src0_sel:DWORD src1_sel:WORD_1
	v_mul_f16_sdwa v64, v28, v8 dst_sel:DWORD dst_unused:UNUSED_PAD src0_sel:DWORD src1_sel:WORD_1
	;; [unrolled: 1-line block ×8, first 2 shown]
	v_add_f16_e32 v79, v25, v27
	v_add_f16_e32 v80, v23, v29
	;; [unrolled: 1-line block ×5, first 2 shown]
	v_sub_f16_e32 v92, v72, v74
	v_sub_f16_e32 v93, v78, v76
	v_fma_f16 v62, v28, v8, -v62
	v_fmac_f16_e32 v64, v67, v8
	v_fma_f16 v67, v30, v9, -v65
	v_fmac_f16_e32 v71, v68, v9
	;; [unrolled: 2-line block ×3, first 2 shown]
	v_sub_f16_e32 v86, v23, v27
	v_sub_f16_e32 v87, v29, v31
	v_fma_f16 v75, v63, v11, -v75
	v_fmac_f16_e32 v77, v70, v11
	v_add_f16_e32 v94, v72, v78
	v_sub_f16_e32 v81, v72, v78
	v_sub_f16_e32 v82, v74, v76
	;; [unrolled: 1-line block ×8, first 2 shown]
	v_add_f16_e32 v23, v79, v23
	v_fma_f16 v28, -0.5, v80, v25
	v_fma_f16 v27, -0.5, v85, v25
	v_add_f16_e32 v25, v88, v74
	v_fma_f16 v63, -0.5, v89, v61
	v_add_f16_e32 v74, v92, v93
	v_add_f16_e32 v68, v26, v62
	;; [unrolled: 1-line block ×8, first 2 shown]
	v_fmac_f16_e32 v61, -0.5, v94
	v_add_f16_e32 v70, v83, v84
	v_add_f16_e32 v72, v72, v95
	v_sub_f16_e32 v80, v64, v77
	v_sub_f16_e32 v84, v62, v67
	;; [unrolled: 1-line block ×7, first 2 shown]
	v_add_f16_e32 v99, v23, v29
	v_add_f16_e32 v68, v68, v67
	v_fma_f16 v23, -0.5, v69, v26
	v_add_f16_e32 v69, v89, v71
	v_fma_f16 v64, -0.5, v92, v60
	v_sub_f16_e32 v83, v71, v73
	v_sub_f16_e32 v94, v67, v32
	v_add_f16_e32 v25, v25, v76
	v_fmac_f16_e32 v26, -0.5, v86
	v_fmac_f16_e32 v60, -0.5, v96
	v_fmamk_f16 v29, v81, 0x3b9c, v28
	v_fmac_f16_e32 v28, 0xbb9c, v81
	v_fmamk_f16 v66, v90, 0xbb9c, v63
	v_fmamk_f16 v65, v91, 0x3b9c, v61
	v_fmac_f16_e32 v61, 0xbb9c, v91
	v_sub_f16_e32 v85, v75, v32
	v_sub_f16_e32 v88, v32, v75
	;; [unrolled: 1-line block ×3, first 2 shown]
	v_fmamk_f16 v30, v82, 0xbb9c, v27
	v_add_f16_e32 v71, v62, v95
	v_add_f16_e32 v62, v99, v31
	;; [unrolled: 1-line block ×3, first 2 shown]
	v_fmamk_f16 v32, v80, 0x3b9c, v23
	v_add_f16_e32 v73, v69, v73
	v_fmamk_f16 v69, v93, 0xbb9c, v64
	v_fmac_f16_e32 v27, 0x3b9c, v82
	v_add_f16_e32 v67, v25, v78
	v_fmamk_f16 v25, v83, 0xbb9c, v26
	v_fmamk_f16 v68, v94, 0x3b9c, v60
	v_fmac_f16_e32 v63, 0x3b9c, v90
	v_fmac_f16_e32 v26, 0x3b9c, v83
	;; [unrolled: 1-line block ×10, first 2 shown]
	v_add_f16_e32 v76, v84, v85
	v_fmac_f16_e32 v30, 0x38b4, v81
	v_fmac_f16_e32 v32, 0x38b4, v83
	;; [unrolled: 1-line block ×3, first 2 shown]
	v_add_f16_e32 v84, v87, v88
	v_add_f16_e32 v85, v97, v98
	v_fmac_f16_e32 v27, 0xb8b4, v81
	v_fmac_f16_e32 v25, 0x38b4, v80
	;; [unrolled: 1-line block ×13, first 2 shown]
	v_pack_b32_f16 v72, v62, v67
	v_add_f16_e32 v31, v31, v75
	v_add_f16_e32 v70, v73, v77
	v_fmac_f16_e32 v30, 0x34f2, v79
	v_fmac_f16_e32 v32, 0x34f2, v76
	;; [unrolled: 1-line block ×11, first 2 shown]
	ds_write_b32 v40, v72
	v_pack_b32_f16 v72, v29, v66
	v_pack_b32_f16 v71, v31, v70
	;; [unrolled: 1-line block ×9, first 2 shown]
	ds_write2_b32 v40, v71, v72 offset0:91 offset1:182
	ds_write2_b32 v33, v76, v73 offset0:17 offset1:108
	;; [unrolled: 1-line block ×4, first 2 shown]
	ds_write_b32 v40, v79 offset:3276
	s_waitcnt lgkmcnt(0)
	s_barrier
	buffer_gl0_inv
	s_and_saveexec_b32 s2, vcc_lo
	s_cbranch_execz .LBB0_13
; %bb.12:
	v_add_co_u32 v75, s1, s10, v38
	v_add_co_ci_u32_e64 v76, null, s11, 0, s1
	v_add_nc_u32_e32 v95, 0x200, v40
	v_add_co_u32 v71, s1, 0x800, v75
	v_add_co_ci_u32_e64 v72, s1, 0, v76, s1
	v_add_nc_u32_e32 v96, 0xc00, v40
	global_load_dword v77, v[71:72], off offset:1592
	v_add_co_u32 v71, s1, 0xe38, v75
	v_add_co_ci_u32_e64 v72, s1, 0, v76, s1
	v_add_co_u32 v73, s1, 0x1000, v75
	v_add_co_ci_u32_e64 v74, s1, 0, v76, s1
	s_clause 0x1
	global_load_dword v83, v[71:72], off offset:280
	global_load_dword v84, v[71:72], off offset:560
	v_add_co_u32 v75, s1, 0x1800, v75
	s_clause 0x3
	global_load_dword v85, v[71:72], off offset:840
	global_load_dword v86, v[71:72], off offset:1120
	;; [unrolled: 1-line block ×4, first 2 shown]
	v_add_co_ci_u32_e64 v76, s1, 0, v76, s1
	s_clause 0x5
	global_load_dword v89, v[71:72], off offset:1960
	global_load_dword v90, v[73:74], off offset:1784
	;; [unrolled: 1-line block ×6, first 2 shown]
	ds_read_b32 v71, v40
	s_waitcnt lgkmcnt(0)
	v_lshrrev_b32_e32 v72, 16, v71
	s_waitcnt vmcnt(12)
	v_mul_f16_sdwa v73, v72, v77 dst_sel:DWORD dst_unused:UNUSED_PAD src0_sel:DWORD src1_sel:WORD_1
	v_mul_f16_sdwa v74, v71, v77 dst_sel:DWORD dst_unused:UNUSED_PAD src0_sel:DWORD src1_sel:WORD_1
	v_fma_f16 v71, v71, v77, -v73
	v_fmac_f16_e32 v74, v72, v77
	v_pack_b32_f16 v71, v71, v74
	ds_write_b32 v40, v71
	ds_read2_b32 v[71:72], v40 offset0:70 offset1:140
	ds_read2_b32 v[73:74], v95 offset0:82 offset1:152
	;; [unrolled: 1-line block ×6, first 2 shown]
	s_waitcnt lgkmcnt(5)
	v_lshrrev_b32_e32 v97, 16, v71
	s_waitcnt vmcnt(11)
	v_mul_f16_sdwa v98, v71, v83 dst_sel:DWORD dst_unused:UNUSED_PAD src0_sel:DWORD src1_sel:WORD_1
	v_lshrrev_b32_e32 v99, 16, v72
	s_waitcnt vmcnt(10)
	v_mul_f16_sdwa v100, v72, v84 dst_sel:DWORD dst_unused:UNUSED_PAD src0_sel:DWORD src1_sel:WORD_1
	s_waitcnt lgkmcnt(4)
	v_lshrrev_b32_e32 v101, 16, v73
	s_waitcnt vmcnt(9)
	v_mul_f16_sdwa v102, v73, v85 dst_sel:DWORD dst_unused:UNUSED_PAD src0_sel:DWORD src1_sel:WORD_1
	v_lshrrev_b32_e32 v103, 16, v74
	s_waitcnt vmcnt(8)
	v_mul_f16_sdwa v104, v74, v86 dst_sel:DWORD dst_unused:UNUSED_PAD src0_sel:DWORD src1_sel:WORD_1
	;; [unrolled: 7-line block ×5, first 2 shown]
	s_waitcnt lgkmcnt(0)
	v_lshrrev_b32_e32 v117, 16, v81
	s_waitcnt vmcnt(1)
	v_mul_f16_sdwa v118, v81, v93 dst_sel:DWORD dst_unused:UNUSED_PAD src0_sel:DWORD src1_sel:WORD_1
	v_lshrrev_b32_e32 v119, 16, v82
	v_mul_f16_sdwa v121, v97, v83 dst_sel:DWORD dst_unused:UNUSED_PAD src0_sel:DWORD src1_sel:WORD_1
	v_fmac_f16_e32 v98, v97, v83
	v_mul_f16_sdwa v97, v99, v84 dst_sel:DWORD dst_unused:UNUSED_PAD src0_sel:DWORD src1_sel:WORD_1
	v_fmac_f16_e32 v100, v99, v84
	;; [unrolled: 2-line block ×9, first 2 shown]
	v_mul_f16_sdwa v113, v115, v92 dst_sel:DWORD dst_unused:UNUSED_PAD src0_sel:DWORD src1_sel:WORD_1
	s_waitcnt vmcnt(0)
	v_mul_f16_sdwa v120, v82, v94 dst_sel:DWORD dst_unused:UNUSED_PAD src0_sel:DWORD src1_sel:WORD_1
	v_fmac_f16_e32 v116, v115, v92
	v_mul_f16_sdwa v115, v117, v93 dst_sel:DWORD dst_unused:UNUSED_PAD src0_sel:DWORD src1_sel:WORD_1
	v_fmac_f16_e32 v118, v117, v93
	v_mul_f16_sdwa v117, v119, v94 dst_sel:DWORD dst_unused:UNUSED_PAD src0_sel:DWORD src1_sel:WORD_1
	v_fma_f16 v71, v71, v83, -v121
	v_fma_f16 v72, v72, v84, -v97
	;; [unrolled: 1-line block ×10, first 2 shown]
	v_fmac_f16_e32 v120, v119, v94
	v_fma_f16 v81, v81, v93, -v115
	v_fma_f16 v82, v82, v94, -v117
	v_pack_b32_f16 v71, v71, v98
	v_pack_b32_f16 v72, v72, v100
	;; [unrolled: 1-line block ×12, first 2 shown]
	ds_write2_b32 v40, v71, v72 offset0:70 offset1:140
	ds_write2_b32 v95, v73, v74 offset0:82 offset1:152
	;; [unrolled: 1-line block ×6, first 2 shown]
.LBB0_13:
	s_or_b32 exec_lo, exec_lo, s2
	s_waitcnt lgkmcnt(0)
	s_barrier
	buffer_gl0_inv
	s_and_saveexec_b32 s1, vcc_lo
	s_cbranch_execz .LBB0_15
; %bb.14:
	v_add_nc_u32_e32 v21, 0x200, v40
	v_add_nc_u32_e32 v22, 0x400, v40
	;; [unrolled: 1-line block ×3, first 2 shown]
	ds_read_b32 v62, v40
	ds_read2_b32 v[29:30], v40 offset0:70 offset1:140
	ds_read2_b32 v[27:28], v21 offset0:82 offset1:152
	v_add_nc_u32_e32 v21, 0x800, v40
	ds_read2_b32 v[31:32], v22 offset0:94 offset1:164
	v_add_nc_u32_e32 v22, 0xc00, v40
	ds_read2_b32 v[25:26], v23 offset0:106 offset1:176
	ds_read2_b32 v[23:24], v21 offset0:118 offset1:188
	;; [unrolled: 1-line block ×3, first 2 shown]
	s_waitcnt lgkmcnt(6)
	v_lshrrev_b32_e32 v67, 16, v62
	s_waitcnt lgkmcnt(5)
	v_lshrrev_b32_e32 v66, 16, v29
	v_lshrrev_b32_e32 v65, 16, v30
	s_waitcnt lgkmcnt(4)
	v_lshrrev_b32_e32 v61, 16, v27
	;; [unrolled: 3-line block ×6, first 2 shown]
	v_lshrrev_b32_e32 v57, 16, v22
.LBB0_15:
	s_or_b32 exec_lo, exec_lo, s1
	v_sub_f16_e32 v125, v66, v57
	v_add_f16_e32 v99, v57, v66
	v_add_f16_e32 v96, v22, v29
	v_sub_f16_e32 v128, v65, v58
	v_sub_f16_e32 v129, v29, v22
	v_mul_f16_e32 v74, 0xb770, v125
	v_mul_f16_e32 v80, 0xba95, v125
	;; [unrolled: 1-line block ×3, first 2 shown]
	v_add_f16_e32 v108, v58, v65
	v_add_f16_e32 v102, v21, v30
	v_fma_f16 v33, v96, 0x3b15, -v74
	v_mul_f16_e32 v76, 0xba95, v128
	v_mul_f16_e32 v75, 0x3b15, v99
	;; [unrolled: 1-line block ×3, first 2 shown]
	v_fma_f16 v36, v96, 0x388b, -v80
	v_fmamk_f16 v71, v129, 0xba95, v83
	v_add_f16_e32 v33, v62, v33
	v_sub_f16_e32 v122, v30, v21
	v_mul_f16_e32 v84, 0xbb7b, v128
	v_fma_f16 v78, v102, 0x388b, -v76
	v_mul_f16_e32 v89, 0xb5ac, v108
	v_mul_f16_e32 v87, 0xbbf1, v125
	v_fmamk_f16 v34, v129, 0xb770, v75
	v_add_f16_e32 v36, v62, v36
	v_add_f16_e32 v71, v67, v71
	v_fmamk_f16 v73, v129, 0xbbf1, v92
	v_mul_f16_e32 v77, 0x388b, v108
	v_fma_f16 v81, v102, 0xb5ac, -v84
	v_add_f16_e32 v33, v78, v33
	v_fmamk_f16 v78, v122, 0xbb7b, v89
	v_mul_f16_e32 v103, 0xbbc4, v108
	v_sub_f16_e32 v130, v61, v59
	v_add_f16_e32 v34, v67, v34
	v_fma_f16 v72, v96, 0x2fb7, -v87
	v_add_f16_e32 v73, v67, v73
	v_mul_f16_e32 v94, 0xb3a8, v128
	v_fmamk_f16 v79, v122, 0xba95, v77
	v_add_f16_e32 v36, v81, v36
	v_add_f16_e32 v71, v78, v71
	;; [unrolled: 1-line block ×3, first 2 shown]
	v_fmamk_f16 v81, v122, 0xb3a8, v103
	v_add_f16_e32 v106, v24, v27
	v_mul_f16_e32 v78, 0xbbf1, v130
	v_add_f16_e32 v72, v62, v72
	v_fma_f16 v82, v102, 0xbbc4, -v94
	v_add_f16_e32 v34, v79, v34
	v_sub_f16_e32 v123, v27, v24
	v_mul_f16_e32 v79, 0x2fb7, v107
	v_add_f16_e32 v73, v81, v73
	v_fma_f16 v81, v106, 0x2fb7, -v78
	v_mul_f16_e32 v100, 0x3b7b, v130
	v_add_f16_e32 v72, v82, v72
	v_mul_f16_e32 v90, 0xb3a8, v130
	v_mul_f16_e32 v93, 0xbbc4, v107
	v_fmamk_f16 v82, v123, 0xbbf1, v79
	v_add_f16_e32 v33, v81, v33
	v_fma_f16 v81, v106, 0xb5ac, -v100
	v_sub_f16_e32 v131, v63, v64
	v_add_f16_e32 v112, v64, v63
	v_fma_f16 v85, v106, 0xbbc4, -v90
	v_fmamk_f16 v86, v123, 0xb3a8, v93
	v_add_f16_e32 v34, v82, v34
	v_mul_f16_e32 v110, 0xb5ac, v107
	v_add_f16_e32 v72, v81, v72
	v_add_f16_e32 v111, v23, v28
	v_sub_f16_e32 v124, v28, v23
	v_mul_f16_e32 v81, 0xbb7b, v131
	v_mul_f16_e32 v82, 0xb5ac, v112
	;; [unrolled: 1-line block ×3, first 2 shown]
	v_add_f16_e32 v36, v85, v36
	v_add_f16_e32 v71, v86, v71
	v_mul_f16_e32 v101, 0xb9fd, v112
	v_fmamk_f16 v85, v123, 0x3b7b, v110
	v_fma_f16 v86, v111, 0xb5ac, -v81
	v_fmamk_f16 v91, v124, 0xbb7b, v82
	v_fma_f16 v95, v111, 0xb9fd, -v88
	v_mul_f16_e32 v105, 0x3770, v131
	v_sub_f16_e32 v132, v70, v60
	v_add_f16_e32 v116, v60, v70
	v_fmamk_f16 v97, v124, 0x394e, v101
	v_add_f16_e32 v73, v85, v73
	v_add_f16_e32 v33, v86, v33
	;; [unrolled: 1-line block ×4, first 2 shown]
	v_mul_f16_e32 v114, 0x3b15, v112
	v_add_f16_e32 v115, v26, v31
	v_sub_f16_e32 v126, v31, v26
	v_mul_f16_e32 v85, 0xb94e, v132
	v_mul_f16_e32 v86, 0xb9fd, v116
	v_fma_f16 v91, v111, 0x3b15, -v105
	v_mul_f16_e32 v95, 0x3bf1, v132
	v_add_f16_e32 v71, v97, v71
	v_fmamk_f16 v97, v124, 0x3770, v114
	v_fma_f16 v98, v115, 0xb9fd, -v85
	v_fmamk_f16 v104, v126, 0xb94e, v86
	v_add_f16_e32 v72, v91, v72
	v_fma_f16 v91, v115, 0x2fb7, -v95
	v_mul_f16_e32 v109, 0x2fb7, v116
	v_sub_f16_e32 v133, v69, v68
	v_mul_f16_e32 v113, 0xba95, v132
	v_mul_f16_e32 v119, 0x388b, v116
	v_add_f16_e32 v73, v97, v73
	v_add_f16_e32 v33, v98, v33
	;; [unrolled: 1-line block ×4, first 2 shown]
	v_fmamk_f16 v34, v126, 0x3bf1, v109
	v_add_f16_e32 v118, v25, v32
	v_mul_f16_e32 v91, 0xb3a8, v133
	v_fma_f16 v97, v115, 0x388b, -v113
	v_fmamk_f16 v98, v126, 0xba95, v119
	v_add_f16_e32 v121, v68, v69
	v_add_f16_e32 v71, v34, v71
	v_fma_f16 v34, v118, 0xbbc4, -v91
	v_add_f16_e32 v72, v97, v72
	v_add_f16_e32 v135, v98, v73
	v_sub_f16_e32 v127, v32, v25
	v_mul_f16_e32 v98, 0xbbc4, v121
	v_mul_f16_e32 v97, 0x3770, v133
	;; [unrolled: 1-line block ×5, first 2 shown]
	v_add_f16_e32 v34, v34, v33
	v_fmamk_f16 v33, v127, 0xb3a8, v98
	v_fma_f16 v136, v118, 0x3b15, -v97
	v_fmamk_f16 v137, v127, 0x3770, v104
	v_fma_f16 v138, v118, 0xb9fd, -v117
	v_fmamk_f16 v139, v127, 0xb94e, v120
	v_add_f16_e32 v73, v33, v134
	v_add_f16_e32 v33, v136, v36
	v_add_f16_e32 v71, v137, v71
	v_add_f16_e32 v36, v138, v72
	v_add_f16_e32 v72, v139, v135
	s_barrier
	buffer_gl0_inv
	s_and_saveexec_b32 s1, vcc_lo
	s_cbranch_execz .LBB0_17
; %bb.16:
	v_mul_f16_e32 v134, 0xbb7b, v129
	v_mul_f16_e32 v138, 0x394e, v122
	;; [unrolled: 1-line block ×5, first 2 shown]
	v_fmamk_f16 v139, v99, 0xb5ac, v134
	v_fmamk_f16 v143, v108, 0xb9fd, v138
	v_fma_f16 v149, v96, 0xb5ac, -v146
	v_mul_f16_e32 v145, 0xbbf1, v124
	v_fmamk_f16 v147, v107, 0x3b15, v142
	v_add_f16_e32 v139, v67, v139
	v_fma_f16 v151, v102, 0xb9fd, -v148
	v_add_f16_e32 v149, v62, v149
	v_mul_f16_e32 v152, 0x3770, v130
	v_fmamk_f16 v150, v112, 0x2fb7, v145
	v_add_f16_e32 v139, v143, v139
	v_mul_f16_e32 v154, 0xbbf1, v131
	v_add_f16_e32 v149, v151, v149
	v_fma_f16 v151, v106, 0x3b15, -v152
	v_mul_f16_e32 v156, 0x33a8, v132
	v_add_f16_e32 v139, v147, v139
	v_mul_f16_e32 v147, 0x33a8, v126
	v_mul_f16_e32 v155, 0xb94e, v129
	v_add_f16_e32 v149, v151, v149
	v_fma_f16 v151, v111, 0x2fb7, -v154
	v_add_f16_e32 v139, v150, v139
	v_fmamk_f16 v150, v116, 0xbbc4, v147
	v_mul_f16_e32 v161, 0xb94e, v125
	v_fmamk_f16 v158, v99, 0xb9fd, v155
	v_add_f16_e32 v149, v151, v149
	v_fma_f16 v151, v115, 0xbbc4, -v156
	v_add_f16_e32 v139, v150, v139
	v_mul_f16_e32 v150, 0x3a95, v127
	v_mul_f16_e32 v159, 0x3bf1, v122
	v_fma_f16 v164, v96, 0xb9fd, -v161
	v_add_f16_e32 v149, v151, v149
	v_mul_f16_e32 v151, 0x3a95, v133
	v_fmamk_f16 v157, v121, 0x388b, v150
	v_mul_f16_e32 v165, 0x3bf1, v128
	v_mul_f16_e32 v160, 0xba95, v123
	v_add_f16_e32 v164, v62, v164
	v_fma_f16 v163, v118, 0x388b, -v151
	v_add_f16_e32 v139, v157, v139
	v_add_f16_e32 v157, v67, v158
	v_fmamk_f16 v158, v108, 0x2fb7, v159
	v_fma_f16 v167, v102, 0x2fb7, -v165
	v_mul_f16_e32 v168, 0xba95, v130
	v_mul_f16_e32 v162, 0x33a8, v124
	v_add_f16_e32 v149, v163, v149
	v_add_f16_e32 v157, v158, v157
	v_fmamk_f16 v158, v107, 0x388b, v160
	v_add_f16_e32 v163, v167, v164
	v_fma_f16 v164, v106, 0x388b, -v168
	v_mul_f16_e32 v167, 0x33a8, v131
	v_mul_f16_e32 v166, 0x3770, v126
	v_add_f16_e32 v157, v158, v157
	v_fmamk_f16 v158, v112, 0xbbc4, v162
	v_add_f16_e32 v163, v164, v163
	v_fma_f16 v164, v111, 0xbbc4, -v167
	v_mul_f16_e32 v169, 0x3770, v132
	v_mul_f16_e32 v125, 0xb3a8, v125
	;; [unrolled: 6-line block ×3, first 2 shown]
	v_mul_f16_e32 v144, 0xbbf1, v129
	v_add_f16_e32 v157, v158, v157
	v_mul_f16_e32 v158, 0xbb7b, v127
	v_mul_f16_e32 v129, 0xb3a8, v129
	v_add_f16_e32 v163, v164, v163
	v_mul_f16_e32 v164, 0xbb7b, v133
	v_fma_f16 v176, v96, 0xbbc4, -v125
	v_mul_f16_e32 v128, 0x3770, v128
	v_fmac_f16_e32 v125, 0xbbc4, v96
	v_fmamk_f16 v170, v121, 0xb5ac, v158
	v_fmamk_f16 v171, v99, 0xbbc4, v129
	v_mul_f16_e32 v172, 0x3770, v122
	v_fma_f16 v175, v118, 0xb5ac, -v164
	v_add_f16_e32 v176, v62, v176
	v_fma_f16 v178, v102, 0x3b15, -v128
	v_mul_f16_e32 v130, 0xb94e, v130
	v_add_f16_e32 v125, v62, v125
	v_fmac_f16_e32 v128, 0x3b15, v102
	v_mul_f16_e32 v137, 0x388b, v96
	v_add_f16_e32 v157, v170, v157
	v_add_f16_e32 v170, v67, v171
	v_fmamk_f16 v171, v108, 0x3b15, v172
	v_mul_f16_e32 v173, 0xb94e, v123
	v_add_f16_e32 v163, v175, v163
	v_add_f16_e32 v175, v178, v176
	v_fma_f16 v176, v106, 0xb9fd, -v130
	v_add_f16_e32 v125, v128, v125
	v_fmac_f16_e32 v130, 0xb9fd, v106
	v_add_f16_e32 v170, v171, v170
	v_fmamk_f16 v171, v107, 0xb9fd, v173
	v_mul_f16_e32 v174, 0x3a95, v124
	v_mul_f16_e32 v178, 0xb5ac, v102
	v_add_f16_e32 v125, v130, v125
	v_fma_f16 v130, v99, 0xb9fd, -v155
	v_fmac_f16_e32 v161, 0xb9fd, v96
	v_add_f16_e32 v80, v137, v80
	v_add_f16_e32 v29, v29, v62
	;; [unrolled: 1-line block ×4, first 2 shown]
	v_fmamk_f16 v171, v112, 0x388b, v174
	v_mul_f16_e32 v177, 0xbb7b, v126
	v_fma_f16 v129, v99, 0xbbc4, -v129
	v_mul_f16_e32 v128, 0xbbc4, v106
	v_add_f16_e32 v130, v67, v130
	v_fma_f16 v159, v108, 0x2fb7, -v159
	v_add_f16_e32 v161, v62, v161
	v_fmac_f16_e32 v165, 0x2fb7, v102
	v_add_f16_e32 v80, v62, v80
	v_add_f16_e32 v84, v178, v84
	;; [unrolled: 1-line block ×5, first 2 shown]
	v_fmamk_f16 v171, v116, 0xb5ac, v177
	v_mul_f16_e32 v131, 0x3a95, v131
	v_add_f16_e32 v129, v67, v129
	v_fma_f16 v172, v108, 0x3b15, -v172
	v_add_f16_e32 v130, v159, v130
	v_mul_f16_e32 v159, 0xb9fd, v111
	v_add_f16_e32 v161, v165, v161
	v_fmac_f16_e32 v168, 0x388b, v106
	v_add_f16_e32 v80, v84, v80
	v_add_f16_e32 v84, v128, v90
	;; [unrolled: 1-line block ×5, first 2 shown]
	v_mul_f16_e32 v171, 0x3bf1, v127
	v_add_f16_e32 v175, v176, v175
	v_fma_f16 v176, v111, 0x388b, -v131
	v_mul_f16_e32 v132, 0xbb7b, v132
	v_add_f16_e32 v129, v172, v129
	v_fma_f16 v173, v107, 0xb9fd, -v173
	v_add_f16_e32 v161, v168, v161
	v_mul_f16_e32 v168, 0x2fb7, v115
	v_add_f16_e32 v80, v84, v80
	v_add_f16_e32 v84, v159, v88
	;; [unrolled: 1-line block ×4, first 2 shown]
	v_mul_f16_e32 v135, 0x3b15, v96
	v_mul_f16_e32 v141, 0x2fb7, v96
	v_add_f16_e32 v175, v176, v175
	v_fmamk_f16 v176, v121, 0x2fb7, v171
	v_fma_f16 v172, v115, 0xb5ac, -v132
	v_mul_f16_e32 v133, 0x3bf1, v133
	v_add_f16_e32 v129, v173, v129
	v_fma_f16 v174, v112, 0x388b, -v174
	v_add_f16_e32 v65, v84, v80
	v_add_f16_e32 v66, v168, v95
	;; [unrolled: 1-line block ×4, first 2 shown]
	v_mul_f16_e32 v143, 0x388b, v102
	v_mul_f16_e32 v153, 0xba95, v122
	v_add_f16_e32 v170, v176, v170
	v_mul_f16_e32 v176, 0xbb7b, v122
	v_add_f16_e32 v172, v172, v175
	v_fma_f16 v175, v118, 0x2fb7, -v133
	v_add_f16_e32 v129, v174, v129
	v_fma_f16 v174, v116, 0xb5ac, -v177
	v_fmac_f16_e32 v131, 0x388b, v111
	v_fma_f16 v160, v107, 0x388b, -v160
	v_fmac_f16_e32 v146, 0xb5ac, v96
	v_add_f16_e32 v87, v141, v87
	v_sub_f16_e32 v83, v83, v140
	v_sub_f16_e32 v30, v75, v136
	v_add_f16_e32 v61, v66, v65
	v_add_f16_e32 v65, v135, v74
	v_add_f16_e32 v27, v32, v27
	v_add_f16_e32 v28, v69, v28
	v_mul_f16_e32 v173, 0xbbc4, v102
	v_mul_f16_e32 v122, 0xb3a8, v122
	v_sub_f16_e32 v92, v92, v144
	v_add_f16_e32 v172, v175, v172
	v_mul_f16_e32 v175, 0x2fb7, v106
	v_mul_f16_e32 v177, 0xbbf1, v123
	v_add_f16_e32 v129, v174, v129
	v_mul_f16_e32 v174, 0xb3a8, v123
	v_fma_f16 v171, v121, 0x2fb7, -v171
	v_add_f16_e32 v125, v131, v125
	v_fmac_f16_e32 v132, 0xb5ac, v115
	v_add_f16_e32 v130, v160, v130
	v_fma_f16 v162, v112, 0xbbc4, -v162
	v_fma_f16 v99, v99, 0xb5ac, -v134
	v_add_f16_e32 v146, v62, v146
	v_add_f16_e32 v87, v62, v87
	;; [unrolled: 1-line block ×3, first 2 shown]
	v_sub_f16_e32 v89, v89, v176
	v_add_f16_e32 v29, v67, v30
	v_sub_f16_e32 v30, v77, v153
	v_add_f16_e32 v62, v62, v65
	v_add_f16_e32 v31, v143, v76
	;; [unrolled: 1-line block ×4, first 2 shown]
	v_mul_f16_e32 v155, 0xb5ac, v106
	v_mul_f16_e32 v123, 0x3b7b, v123
	v_add_f16_e32 v92, v67, v92
	v_sub_f16_e32 v103, v103, v122
	v_add_f16_e32 v94, v173, v94
	v_add_f16_e32 v129, v171, v129
	v_mul_f16_e32 v171, 0xb5ac, v111
	v_mul_f16_e32 v131, 0xbb7b, v124
	v_add_f16_e32 v125, v132, v125
	v_mul_f16_e32 v132, 0x394e, v124
	v_add_f16_e32 v130, v162, v130
	v_fma_f16 v162, v116, 0x3b15, -v166
	v_fmac_f16_e32 v167, 0xbbc4, v111
	v_fma_f16 v108, v108, 0xb9fd, -v138
	v_add_f16_e32 v99, v67, v99
	v_fmac_f16_e32 v148, 0xb9fd, v102
	v_add_f16_e32 v83, v89, v83
	v_sub_f16_e32 v89, v93, v174
	v_add_f16_e32 v29, v30, v29
	v_sub_f16_e32 v30, v79, v177
	v_add_f16_e32 v31, v31, v62
	v_add_f16_e32 v32, v175, v78
	;; [unrolled: 1-line block ×4, first 2 shown]
	v_mul_f16_e32 v160, 0x3b15, v111
	v_mul_f16_e32 v124, 0x3770, v124
	v_add_f16_e32 v92, v103, v92
	v_sub_f16_e32 v103, v110, v123
	v_add_f16_e32 v87, v94, v87
	v_add_f16_e32 v94, v155, v100
	v_mul_f16_e32 v165, 0xb9fd, v115
	v_mul_f16_e32 v166, 0xb94e, v126
	v_add_f16_e32 v130, v162, v130
	v_mul_f16_e32 v162, 0x3bf1, v126
	v_fma_f16 v158, v121, 0xb5ac, -v158
	v_add_f16_e32 v161, v167, v161
	v_fmac_f16_e32 v169, 0x3b15, v115
	v_add_f16_e32 v99, v108, v99
	v_fma_f16 v107, v107, 0x3b15, -v142
	v_add_f16_e32 v108, v148, v146
	v_fmac_f16_e32 v152, 0x3b15, v106
	v_add_f16_e32 v83, v89, v83
	v_sub_f16_e32 v89, v101, v132
	v_add_f16_e32 v29, v30, v29
	v_sub_f16_e32 v28, v82, v131
	v_add_f16_e32 v30, v32, v31
	v_add_f16_e32 v31, v171, v81
	;; [unrolled: 1-line block ×4, first 2 shown]
	v_mul_f16_e32 v167, 0x388b, v115
	v_mul_f16_e32 v126, 0xba95, v126
	v_add_f16_e32 v92, v103, v92
	v_sub_f16_e32 v103, v114, v124
	v_add_f16_e32 v87, v94, v87
	v_add_f16_e32 v94, v160, v105
	;; [unrolled: 1-line block ×3, first 2 shown]
	v_mul_f16_e32 v158, 0xbbc4, v118
	v_add_f16_e32 v161, v169, v161
	v_mul_f16_e32 v169, 0xb3a8, v127
	v_mul_f16_e32 v134, 0x3b15, v118
	;; [unrolled: 1-line block ×3, first 2 shown]
	v_add_f16_e32 v99, v107, v99
	v_fma_f16 v106, v112, 0x2fb7, -v145
	v_add_f16_e32 v107, v152, v108
	v_fmac_f16_e32 v154, 0x2fb7, v111
	v_add_f16_e32 v83, v89, v83
	v_sub_f16_e32 v89, v109, v162
	v_add_f16_e32 v27, v28, v29
	v_sub_f16_e32 v28, v86, v166
	v_add_f16_e32 v29, v31, v30
	v_add_f16_e32 v26, v165, v85
	;; [unrolled: 1-line block ×4, first 2 shown]
	v_mul_f16_e32 v96, 0xb9fd, v118
	v_mul_f16_e32 v127, 0xb94e, v127
	v_add_f16_e32 v92, v103, v92
	v_sub_f16_e32 v103, v119, v126
	v_add_f16_e32 v87, v94, v87
	v_add_f16_e32 v93, v167, v113
	v_add_f16_e32 v99, v106, v99
	v_fma_f16 v106, v116, 0xbbc4, -v147
	v_add_f16_e32 v107, v154, v107
	v_fmac_f16_e32 v156, 0xbbc4, v115
	v_add_f16_e32 v83, v89, v83
	v_sub_f16_e32 v80, v104, v138
	v_add_f16_e32 v27, v28, v27
	v_sub_f16_e32 v28, v98, v169
	v_add_f16_e32 v25, v26, v29
	v_add_f16_e32 v26, v158, v91
	;; [unrolled: 1-line block ×6, first 2 shown]
	v_sub_f16_e32 v103, v120, v127
	v_add_f16_e32 v87, v93, v87
	v_add_f16_e32 v90, v96, v117
	v_fmac_f16_e32 v164, 0xb5ac, v118
	v_add_f16_e32 v99, v106, v99
	v_fma_f16 v106, v121, 0x388b, -v150
	v_add_f16_e32 v107, v156, v107
	v_fmac_f16_e32 v151, 0x388b, v118
	v_add_f16_e32 v24, v28, v27
	v_add_f16_e32 v25, v26, v25
	v_and_b32_e32 v26, 0xffff, v35
	v_add_f16_e32 v21, v22, v21
	v_add_f16_e32 v22, v57, v23
	;; [unrolled: 1-line block ×4, first 2 shown]
	v_fmac_f16_e32 v133, 0x2fb7, v118
	v_add_f16_e32 v92, v103, v92
	v_add_f16_e32 v87, v90, v87
	;; [unrolled: 1-line block ×3, first 2 shown]
	v_lshl_add_u32 v26, v26, 2, v39
	v_pack_b32_f16 v24, v25, v24
	v_pack_b32_f16 v21, v21, v22
	;; [unrolled: 1-line block ×3, first 2 shown]
	v_add_f16_e32 v25, v106, v99
	v_add_f16_e32 v27, v151, v107
	v_pack_b32_f16 v22, v87, v92
	v_add_f16_e32 v28, v133, v125
	ds_write2_b32 v26, v21, v24 offset1:1
	ds_write2_b32 v26, v23, v22 offset0:2 offset1:3
	v_pack_b32_f16 v21, v102, v130
	v_pack_b32_f16 v22, v27, v25
	;; [unrolled: 1-line block ×6, first 2 shown]
	v_perm_b32 v28, v71, v33, 0x5040100
	v_perm_b32 v29, v72, v36, 0x5040100
	;; [unrolled: 1-line block ×3, first 2 shown]
	ds_write2_b32 v26, v22, v21 offset0:4 offset1:5
	ds_write2_b32 v26, v24, v23 offset0:6 offset1:7
	;; [unrolled: 1-line block ×4, first 2 shown]
	ds_write_b32 v26, v30 offset:48
.LBB0_17:
	s_or_b32 exec_lo, exec_lo, s1
	v_add_nc_u32_e32 v57, 0x400, v41
	v_add_nc_u32_e32 v29, 0x800, v41
	;; [unrolled: 1-line block ×3, first 2 shown]
	s_waitcnt lgkmcnt(0)
	s_barrier
	buffer_gl0_inv
	ds_read2_b32 v[21:22], v41 offset1:91
	ds_read2_b32 v[23:24], v57 offset0:108 offset1:199
	v_add_nc_u32_e32 v30, 0xa00, v41
	ds_read2_b32 v[25:26], v29 offset0:34 offset1:125
	ds_read2_b32 v[27:28], v27 offset0:54 offset1:145
	;; [unrolled: 1-line block ×3, first 2 shown]
	s_waitcnt lgkmcnt(0)
	s_barrier
	buffer_gl0_inv
	v_lshrrev_b32_e32 v35, 16, v22
	v_lshrrev_b32_e32 v58, 16, v24
	v_mul_f16_sdwa v66, v45, v24 dst_sel:DWORD dst_unused:UNUSED_PAD src0_sel:WORD_1 src1_sel:DWORD
	v_lshrrev_b32_e32 v59, 16, v25
	v_lshrrev_b32_e32 v61, 16, v26
	v_mul_f16_sdwa v67, v47, v25 dst_sel:DWORD dst_unused:UNUSED_PAD src0_sel:WORD_1 src1_sel:DWORD
	v_lshrrev_b32_e32 v63, 16, v30
	v_mul_f16_sdwa v70, v45, v58 dst_sel:DWORD dst_unused:UNUSED_PAD src0_sel:WORD_1 src1_sel:DWORD
	v_lshrrev_b32_e32 v65, 16, v31
	v_fma_f16 v58, v45, v58, -v66
	v_mul_f16_sdwa v66, v47, v59 dst_sel:DWORD dst_unused:UNUSED_PAD src0_sel:WORD_1 src1_sel:DWORD
	v_mul_f16_sdwa v68, v48, v26 dst_sel:DWORD dst_unused:UNUSED_PAD src0_sel:WORD_1 src1_sel:DWORD
	v_fma_f16 v59, v47, v59, -v67
	v_mul_f16_sdwa v67, v48, v61 dst_sel:DWORD dst_unused:UNUSED_PAD src0_sel:WORD_1 src1_sel:DWORD
	v_mul_f16_sdwa v69, v46, v30 dst_sel:DWORD dst_unused:UNUSED_PAD src0_sel:WORD_1 src1_sel:DWORD
	;; [unrolled: 1-line block ×3, first 2 shown]
	v_fmac_f16_e32 v70, v45, v24
	v_mul_f16_sdwa v75, v44, v65 dst_sel:DWORD dst_unused:UNUSED_PAD src0_sel:WORD_1 src1_sel:DWORD
	v_fmac_f16_e32 v66, v47, v25
	v_mul_f16_sdwa v25, v44, v31 dst_sel:DWORD dst_unused:UNUSED_PAD src0_sel:WORD_1 src1_sel:DWORD
	v_lshrrev_b32_e32 v32, 16, v21
	v_lshrrev_b32_e32 v60, 16, v27
	v_fmac_f16_e32 v67, v48, v26
	v_fma_f16 v24, v48, v61, -v68
	v_lshrrev_b32_e32 v62, 16, v28
	v_fmac_f16_e32 v74, v46, v30
	v_fma_f16 v26, v46, v63, -v69
	v_sub_f16_e32 v45, v21, v70
	v_lshrrev_b32_e32 v64, 16, v23
	v_fmac_f16_e32 v75, v44, v31
	v_fma_f16 v25, v44, v65, -v25
	v_sub_f16_e32 v47, v35, v59
	v_sub_f16_e32 v44, v32, v58
	;; [unrolled: 1-line block ×5, first 2 shown]
	v_fma_f16 v48, v21, 2.0, -v45
	v_sub_f16_e32 v21, v28, v74
	v_sub_f16_e32 v30, v62, v26
	v_fma_f16 v63, v35, 2.0, -v47
	v_sub_f16_e32 v35, v23, v75
	v_sub_f16_e32 v31, v64, v25
	v_fma_f16 v59, v32, 2.0, -v44
	v_fma_f16 v61, v22, 2.0, -v46
	;; [unrolled: 1-line block ×8, first 2 shown]
	v_pack_b32_f16 v23, v48, v59
	v_pack_b32_f16 v44, v45, v44
	;; [unrolled: 1-line block ×10, first 2 shown]
	ds_write2_b32 v49, v23, v44 offset1:13
	ds_write2_b32 v50, v45, v46 offset1:13
	;; [unrolled: 1-line block ×5, first 2 shown]
	s_waitcnt lgkmcnt(0)
	s_barrier
	buffer_gl0_inv
	ds_read2_b32 v[23:24], v41 offset1:130
	ds_read2_b32 v[27:28], v57 offset0:4 offset1:134
	ds_read2_b32 v[25:26], v29 offset0:8 offset1:138
	ds_read_b32 v44, v41 offset:3120
	s_and_saveexec_b32 s1, s0
	s_cbranch_execz .LBB0_19
; %bb.18:
	ds_read2_b32 v[21:22], v41 offset0:91 offset1:221
	ds_read2_b32 v[35:36], v57 offset0:95 offset1:225
	;; [unrolled: 1-line block ×3, first 2 shown]
	ds_read_b32 v55, v41 offset:3484
	s_waitcnt lgkmcnt(3)
	v_lshrrev_b32_e32 v30, 16, v21
	v_lshrrev_b32_e32 v32, 16, v22
	s_waitcnt lgkmcnt(2)
	v_lshrrev_b32_e32 v31, 16, v35
	v_lshrrev_b32_e32 v72, 16, v36
	;; [unrolled: 3-line block ×3, first 2 shown]
	s_waitcnt lgkmcnt(0)
	v_lshrrev_b32_e32 v56, 16, v55
.LBB0_19:
	s_or_b32 exec_lo, exec_lo, s1
	s_waitcnt lgkmcnt(3)
	v_lshrrev_b32_e32 v45, 16, v24
	s_waitcnt lgkmcnt(2)
	v_lshrrev_b32_e32 v46, 16, v27
	v_lshrrev_b32_e32 v47, 16, v28
	v_mul_f16_sdwa v48, v4, v24 dst_sel:DWORD dst_unused:UNUSED_PAD src0_sel:WORD_1 src1_sel:DWORD
	s_waitcnt lgkmcnt(1)
	v_lshrrev_b32_e32 v50, 16, v25
	v_mul_f16_sdwa v49, v4, v45 dst_sel:DWORD dst_unused:UNUSED_PAD src0_sel:WORD_1 src1_sel:DWORD
	v_lshrrev_b32_e32 v51, 16, v26
	s_waitcnt lgkmcnt(0)
	v_lshrrev_b32_e32 v52, 16, v44
	v_fma_f16 v45, v4, v45, -v48
	v_mul_f16_sdwa v48, v6, v47 dst_sel:DWORD dst_unused:UNUSED_PAD src0_sel:WORD_1 src1_sel:DWORD
	v_fmac_f16_e32 v49, v4, v24
	v_mul_f16_sdwa v4, v5, v46 dst_sel:DWORD dst_unused:UNUSED_PAD src0_sel:WORD_1 src1_sel:DWORD
	v_mul_f16_sdwa v24, v5, v27 dst_sel:DWORD dst_unused:UNUSED_PAD src0_sel:WORD_1 src1_sel:DWORD
	;; [unrolled: 1-line block ×4, first 2 shown]
	v_fmac_f16_e32 v48, v6, v28
	v_fmac_f16_e32 v4, v5, v27
	v_fma_f16 v5, v5, v46, -v24
	v_mul_f16_sdwa v24, v20, v52 dst_sel:DWORD dst_unused:UNUSED_PAD src0_sel:WORD_1 src1_sel:DWORD
	v_mul_f16_sdwa v27, v20, v44 dst_sel:DWORD dst_unused:UNUSED_PAD src0_sel:WORD_1 src1_sel:DWORD
	;; [unrolled: 1-line block ×4, first 2 shown]
	v_fmac_f16_e32 v57, v7, v25
	v_mul_f16_sdwa v25, v7, v25 dst_sel:DWORD dst_unused:UNUSED_PAD src0_sel:WORD_1 src1_sel:DWORD
	v_fmac_f16_e32 v24, v20, v44
	v_fma_f16 v20, v20, v52, -v27
	v_fmac_f16_e32 v28, v19, v26
	v_fma_f16 v19, v19, v51, -v46
	v_fma_f16 v6, v6, v47, -v53
	;; [unrolled: 1-line block ×3, first 2 shown]
	v_add_f16_e32 v25, v49, v24
	v_add_f16_e32 v26, v45, v20
	;; [unrolled: 1-line block ×4, first 2 shown]
	v_sub_f16_e32 v20, v45, v20
	v_sub_f16_e32 v4, v4, v28
	;; [unrolled: 1-line block ×3, first 2 shown]
	v_add_f16_e32 v19, v48, v57
	v_add_f16_e32 v28, v6, v7
	v_sub_f16_e32 v45, v57, v48
	v_sub_f16_e32 v6, v7, v6
	v_add_f16_e32 v7, v27, v25
	v_add_f16_e32 v46, v44, v26
	v_sub_f16_e32 v24, v49, v24
	v_sub_f16_e32 v47, v27, v25
	;; [unrolled: 1-line block ×7, first 2 shown]
	v_add_f16_e32 v49, v45, v4
	v_add_f16_e32 v50, v6, v5
	v_sub_f16_e32 v51, v45, v4
	v_sub_f16_e32 v52, v6, v5
	v_add_f16_e32 v7, v19, v7
	v_add_f16_e32 v19, v28, v46
	v_sub_f16_e32 v4, v4, v24
	v_sub_f16_e32 v5, v5, v20
	v_sub_f16_e32 v45, v24, v45
	v_sub_f16_e32 v6, v20, v6
	v_add_f16_e32 v24, v49, v24
	v_add_f16_e32 v20, v50, v20
	;; [unrolled: 1-line block ×3, first 2 shown]
	v_add_f16_sdwa v23, v23, v19 dst_sel:DWORD dst_unused:UNUSED_PAD src0_sel:WORD_1 src1_sel:DWORD
	v_mul_f16_e32 v25, 0x3a52, v25
	v_mul_f16_e32 v26, 0x3a52, v26
	;; [unrolled: 1-line block ×8, first 2 shown]
	v_fmamk_f16 v7, v7, 0xbcab, v28
	v_fmamk_f16 v19, v19, 0xbcab, v23
	;; [unrolled: 1-line block ×4, first 2 shown]
	v_fma_f16 v46, v47, 0x39e0, -v46
	v_fma_f16 v49, v48, 0x39e0, -v49
	;; [unrolled: 1-line block ×4, first 2 shown]
	v_fmamk_f16 v47, v45, 0xb574, v50
	v_fmamk_f16 v48, v6, 0xb574, v51
	v_fma_f16 v4, v4, 0xbb00, -v50
	v_fma_f16 v5, v5, 0xbb00, -v51
	;; [unrolled: 1-line block ×4, first 2 shown]
	v_add_f16_e32 v27, v27, v7
	v_add_f16_e32 v44, v44, v19
	v_fmac_f16_e32 v47, 0xb70e, v24
	v_fmac_f16_e32 v48, 0xb70e, v20
	v_add_f16_e32 v46, v46, v7
	v_add_f16_e32 v49, v49, v19
	;; [unrolled: 1-line block ×4, first 2 shown]
	v_fmac_f16_e32 v4, 0xb70e, v24
	v_fmac_f16_e32 v6, 0xb70e, v20
	;; [unrolled: 1-line block ×4, first 2 shown]
	v_add_f16_e32 v20, v48, v27
	v_sub_f16_e32 v24, v44, v47
	v_add_f16_e32 v25, v6, v7
	v_sub_f16_e32 v26, v19, v45
	v_sub_f16_e32 v50, v46, v5
	v_add_f16_e32 v51, v4, v49
	v_add_f16_e32 v5, v5, v46
	v_sub_f16_e32 v4, v49, v4
	v_sub_f16_e32 v6, v7, v6
	v_add_f16_e32 v7, v45, v19
	v_sub_f16_e32 v19, v27, v48
	v_add_f16_e32 v27, v47, v44
	v_add_nc_u32_e32 v29, 0x16c, v40
	v_pack_b32_f16 v23, v28, v23
	v_pack_b32_f16 v20, v20, v24
	v_pack_b32_f16 v24, v25, v26
	v_pack_b32_f16 v25, v50, v51
	v_pack_b32_f16 v4, v5, v4
	v_pack_b32_f16 v5, v6, v7
	v_pack_b32_f16 v6, v19, v27
	s_barrier
	buffer_gl0_inv
	ds_write2_b32 v54, v23, v20 offset1:26
	ds_write2_b32 v54, v24, v25 offset0:52 offset1:78
	ds_write2_b32 v54, v4, v5 offset0:104 offset1:130
	ds_write_b32 v54, v6 offset:624
	s_and_saveexec_b32 s1, s0
	s_cbranch_execz .LBB0_21
; %bb.20:
	v_mul_f16_sdwa v4, v0, v32 dst_sel:DWORD dst_unused:UNUSED_PAD src0_sel:WORD_1 src1_sel:DWORD
	v_mul_f16_sdwa v5, v18, v56 dst_sel:DWORD dst_unused:UNUSED_PAD src0_sel:WORD_1 src1_sel:DWORD
	;; [unrolled: 1-line block ×5, first 2 shown]
	v_fmac_f16_e32 v4, v0, v22
	v_fmac_f16_e32 v5, v18, v55
	v_mul_f16_sdwa v22, v0, v22 dst_sel:DWORD dst_unused:UNUSED_PAD src0_sel:WORD_1 src1_sel:DWORD
	v_fma_f16 v18, v18, v56, -v24
	v_mul_f16_sdwa v24, v17, v34 dst_sel:DWORD dst_unused:UNUSED_PAD src0_sel:WORD_1 src1_sel:DWORD
	v_mul_f16_sdwa v26, v1, v35 dst_sel:DWORD dst_unused:UNUSED_PAD src0_sel:WORD_1 src1_sel:DWORD
	v_mul_f16_sdwa v6, v3, v71 dst_sel:DWORD dst_unused:UNUSED_PAD src0_sel:WORD_1 src1_sel:DWORD
	v_mul_f16_sdwa v7, v2, v72 dst_sel:DWORD dst_unused:UNUSED_PAD src0_sel:WORD_1 src1_sel:DWORD
	v_fmac_f16_e32 v19, v1, v35
	v_fmac_f16_e32 v20, v17, v34
	v_fma_f16 v0, v0, v32, -v22
	v_mul_f16_sdwa v22, v2, v36 dst_sel:DWORD dst_unused:UNUSED_PAD src0_sel:WORD_1 src1_sel:DWORD
	v_mul_f16_sdwa v27, v3, v33 dst_sel:DWORD dst_unused:UNUSED_PAD src0_sel:WORD_1 src1_sel:DWORD
	v_fma_f16 v17, v17, v73, -v24
	v_fma_f16 v1, v1, v31, -v26
	v_fmac_f16_e32 v6, v3, v33
	v_fmac_f16_e32 v7, v2, v36
	v_fma_f16 v2, v2, v72, -v22
	v_fma_f16 v3, v3, v71, -v27
	v_add_f16_e32 v22, v18, v0
	v_add_f16_e32 v26, v17, v1
	v_sub_f16_e32 v23, v4, v5
	v_sub_f16_e32 v25, v6, v7
	;; [unrolled: 1-line block ×3, first 2 shown]
	v_add_f16_e32 v28, v2, v3
	v_add_f16_e32 v32, v26, v22
	;; [unrolled: 1-line block ×3, first 2 shown]
	v_sub_f16_e32 v31, v23, v25
	v_sub_f16_e32 v27, v25, v24
	v_add_f16_e32 v25, v25, v24
	v_add_f16_e32 v32, v28, v32
	;; [unrolled: 1-line block ×4, first 2 shown]
	v_sub_f16_e32 v2, v3, v2
	v_add_f16_e32 v19, v25, v23
	v_add_f16_e32 v30, v30, v32
	;; [unrolled: 1-line block ×3, first 2 shown]
	v_sub_f16_e32 v1, v1, v17
	v_sub_f16_e32 v0, v0, v18
	;; [unrolled: 1-line block ×3, first 2 shown]
	v_fmamk_f16 v7, v32, 0xbcab, v30
	v_sub_f16_e32 v32, v4, v6
	v_add_f16_e32 v25, v6, v25
	v_sub_f16_e32 v18, v2, v1
	v_sub_f16_e32 v35, v0, v2
	v_add_f16_e32 v2, v2, v1
	v_mul_f16_e32 v33, 0x3a52, v33
	v_sub_f16_e32 v28, v28, v26
	v_mul_f16_e32 v3, 0x3a52, v32
	v_sub_f16_e32 v6, v6, v5
	v_add_f16_e32 v17, v21, v25
	v_sub_f16_e32 v23, v24, v23
	v_add_f16_e32 v2, v2, v0
	v_sub_f16_e32 v0, v1, v0
	v_mul_f16_e32 v27, 0x3846, v27
	v_fmamk_f16 v20, v28, 0x2b26, v33
	v_mul_f16_e32 v28, 0x2b26, v28
	v_fmamk_f16 v32, v6, 0x2b26, v3
	v_fmamk_f16 v25, v25, 0xbcab, v17
	v_mul_f16_e32 v18, 0x3846, v18
	v_mul_f16_e32 v6, 0x2b26, v6
	v_sub_f16_e32 v1, v26, v22
	v_sub_f16_e32 v4, v5, v4
	v_mul_f16_e32 v36, 0xbb00, v23
	v_mul_f16_e32 v22, 0xbb00, v0
	v_fmamk_f16 v34, v31, 0xb574, v27
	v_add_f16_e32 v24, v32, v25
	v_fmamk_f16 v32, v35, 0xb574, v18
	v_fma_f16 v26, v1, 0xb9e0, -v33
	v_fma_f16 v3, v4, 0xb9e0, -v3
	;; [unrolled: 1-line block ×5, first 2 shown]
	v_mov_b32_e32 v6, 0xb6
	v_fma_f16 v5, v31, 0x3574, -v36
	v_fma_f16 v22, v35, 0x3574, -v22
	;; [unrolled: 1-line block ×3, first 2 shown]
	v_fmac_f16_e32 v34, 0xb70e, v19
	v_add_f16_e32 v20, v20, v7
	v_fmac_f16_e32 v32, 0xb70e, v2
	v_add_f16_e32 v1, v1, v7
	v_fmac_f16_e32 v23, 0xb70e, v19
	v_mul_u32_u24_sdwa v6, v42, v6 dst_sel:DWORD dst_unused:UNUSED_PAD src0_sel:WORD_0 src1_sel:DWORD
	v_fmac_f16_e32 v5, 0xb70e, v19
	v_add_f16_e32 v26, v26, v7
	v_add_f16_e32 v3, v3, v25
	v_fmac_f16_e32 v22, 0xb70e, v2
	v_fmac_f16_e32 v0, 0xb70e, v2
	v_add_f16_e32 v2, v4, v25
	v_add_f16_e32 v21, v34, v20
	v_sub_f16_e32 v18, v1, v23
	v_add_f16_e32 v1, v23, v1
	v_add_nc_u32_e32 v6, v6, v43
	v_sub_f16_e32 v20, v20, v34
	v_add_f16_e32 v23, v32, v24
	v_add_f16_e32 v4, v5, v26
	v_sub_f16_e32 v7, v3, v22
	v_add_f16_e32 v19, v0, v2
	v_sub_f16_e32 v5, v26, v5
	;; [unrolled: 2-line block ×3, first 2 shown]
	v_sub_f16_e32 v31, v24, v32
	v_lshl_add_u32 v2, v6, 2, v39
	v_pack_b32_f16 v6, v17, v30
	v_pack_b32_f16 v17, v23, v20
	;; [unrolled: 1-line block ×7, first 2 shown]
	ds_write2_b32 v2, v6, v17 offset1:26
	ds_write2_b32 v2, v3, v0 offset0:52 offset1:78
	ds_write2_b32 v2, v1, v4 offset0:104 offset1:130
	ds_write_b32 v2, v5 offset:624
.LBB0_21:
	s_or_b32 exec_lo, exec_lo, s1
	v_add_nc_u32_e32 v2, 0x200, v41
	v_add_nc_u32_e32 v4, 0x400, v41
	;; [unrolled: 1-line block ×4, first 2 shown]
	s_waitcnt lgkmcnt(0)
	s_barrier
	buffer_gl0_inv
	ds_read2_b32 v[0:1], v41 offset1:91
	ds_read2_b32 v[2:3], v2 offset0:54 offset1:145
	ds_read2_b32 v[4:5], v4 offset0:108 offset1:199
	ds_read2_b32 v[6:7], v6 offset0:34 offset1:125
	ds_read2_b32 v[17:18], v17 offset0:88 offset1:179
	s_waitcnt lgkmcnt(3)
	v_lshrrev_b32_e32 v21, 16, v2
	s_waitcnt lgkmcnt(2)
	v_lshrrev_b32_e32 v22, 16, v4
	s_waitcnt lgkmcnt(1)
	v_lshrrev_b32_e32 v23, 16, v6
	v_mul_f16_sdwa v28, v12, v2 dst_sel:DWORD dst_unused:UNUSED_PAD src0_sel:WORD_1 src1_sel:DWORD
	v_mul_f16_sdwa v31, v13, v4 dst_sel:DWORD dst_unused:UNUSED_PAD src0_sel:WORD_1 src1_sel:DWORD
	s_waitcnt lgkmcnt(0)
	v_lshrrev_b32_e32 v24, 16, v17
	v_lshrrev_b32_e32 v25, 16, v3
	v_mul_f16_sdwa v33, v12, v21 dst_sel:DWORD dst_unused:UNUSED_PAD src0_sel:WORD_1 src1_sel:DWORD
	v_fma_f16 v21, v12, v21, -v28
	v_mul_f16_sdwa v28, v13, v22 dst_sel:DWORD dst_unused:UNUSED_PAD src0_sel:WORD_1 src1_sel:DWORD
	v_fma_f16 v22, v13, v22, -v31
	v_mul_f16_sdwa v31, v14, v23 dst_sel:DWORD dst_unused:UNUSED_PAD src0_sel:WORD_1 src1_sel:DWORD
	v_lshrrev_b32_e32 v26, 16, v5
	v_mul_f16_sdwa v32, v14, v6 dst_sel:DWORD dst_unused:UNUSED_PAD src0_sel:WORD_1 src1_sel:DWORD
	v_mul_f16_sdwa v34, v15, v24 dst_sel:DWORD dst_unused:UNUSED_PAD src0_sel:WORD_1 src1_sel:DWORD
	v_fmac_f16_e32 v33, v12, v2
	v_fmac_f16_e32 v28, v13, v4
	;; [unrolled: 1-line block ×3, first 2 shown]
	v_mul_f16_sdwa v2, v15, v17 dst_sel:DWORD dst_unused:UNUSED_PAD src0_sel:WORD_1 src1_sel:DWORD
	v_mul_f16_sdwa v4, v8, v25 dst_sel:DWORD dst_unused:UNUSED_PAD src0_sel:WORD_1 src1_sel:DWORD
	v_mul_f16_sdwa v6, v8, v3 dst_sel:DWORD dst_unused:UNUSED_PAD src0_sel:WORD_1 src1_sel:DWORD
	v_lshrrev_b32_e32 v27, 16, v7
	v_lshrrev_b32_e32 v30, 16, v18
	v_fmac_f16_e32 v34, v15, v17
	v_mul_f16_sdwa v12, v9, v26 dst_sel:DWORD dst_unused:UNUSED_PAD src0_sel:WORD_1 src1_sel:DWORD
	v_mul_f16_sdwa v13, v9, v5 dst_sel:DWORD dst_unused:UNUSED_PAD src0_sel:WORD_1 src1_sel:DWORD
	v_fma_f16 v2, v15, v24, -v2
	v_fmac_f16_e32 v4, v8, v3
	v_fma_f16 v3, v8, v25, -v6
	v_add_f16_e32 v6, v28, v31
	v_lshrrev_b32_e32 v19, 16, v0
	v_fma_f16 v23, v14, v23, -v32
	v_fmac_f16_e32 v12, v9, v5
	v_fma_f16 v5, v9, v26, -v13
	v_mul_f16_sdwa v8, v10, v27 dst_sel:DWORD dst_unused:UNUSED_PAD src0_sel:WORD_1 src1_sel:DWORD
	v_mul_f16_sdwa v9, v10, v7 dst_sel:DWORD dst_unused:UNUSED_PAD src0_sel:WORD_1 src1_sel:DWORD
	;; [unrolled: 1-line block ×3, first 2 shown]
	v_add_f16_e32 v14, v0, v33
	v_fma_f16 v6, -0.5, v6, v0
	v_sub_f16_e32 v15, v21, v2
	v_add_f16_e32 v25, v33, v34
	v_fmac_f16_e32 v8, v10, v7
	v_fma_f16 v7, v10, v27, -v9
	v_fmac_f16_e32 v13, v11, v18
	v_add_f16_e32 v9, v14, v28
	v_fmamk_f16 v10, v15, 0xbb9c, v6
	v_sub_f16_e32 v14, v22, v23
	v_sub_f16_e32 v17, v33, v28
	;; [unrolled: 1-line block ×3, first 2 shown]
	v_mul_f16_sdwa v18, v11, v18 dst_sel:DWORD dst_unused:UNUSED_PAD src0_sel:WORD_1 src1_sel:DWORD
	v_fma_f16 v0, -0.5, v25, v0
	v_fmac_f16_e32 v6, 0x3b9c, v15
	v_add_f16_e32 v26, v19, v21
	v_fmac_f16_e32 v10, 0xb8b4, v14
	v_add_f16_e32 v17, v17, v24
	v_fma_f16 v11, v11, v30, -v18
	v_fmamk_f16 v18, v14, 0x3b9c, v0
	v_sub_f16_e32 v24, v28, v33
	v_sub_f16_e32 v25, v31, v34
	v_fmac_f16_e32 v6, 0x38b4, v14
	v_add_f16_e32 v27, v22, v23
	v_fmac_f16_e32 v0, 0xbb9c, v14
	v_add_f16_e32 v14, v26, v22
	;; [unrolled: 2-line block ×3, first 2 shown]
	v_fma_f16 v25, -0.5, v27, v19
	v_sub_f16_e32 v26, v33, v34
	v_fmac_f16_e32 v6, 0x34f2, v17
	v_add_f16_e32 v14, v14, v23
	v_add_f16_e32 v17, v21, v2
	v_fmac_f16_e32 v18, 0xb8b4, v15
	v_fmac_f16_e32 v0, 0x38b4, v15
	v_fmamk_f16 v15, v26, 0x3b9c, v25
	v_sub_f16_e32 v27, v28, v31
	v_sub_f16_e32 v28, v21, v22
	;; [unrolled: 1-line block ×3, first 2 shown]
	v_fmac_f16_e32 v19, -0.5, v17
	v_add_f16_e32 v14, v14, v2
	v_fmac_f16_e32 v25, 0xbb9c, v26
	v_sub_f16_e32 v21, v22, v21
	v_sub_f16_e32 v2, v23, v2
	v_add_f16_e32 v22, v12, v8
	v_fmac_f16_e32 v18, 0x34f2, v24
	v_fmac_f16_e32 v0, 0x34f2, v24
	;; [unrolled: 1-line block ×3, first 2 shown]
	v_add_f16_e32 v17, v28, v30
	v_fmamk_f16 v24, v27, 0xbb9c, v19
	v_fmac_f16_e32 v25, 0xb8b4, v27
	v_add_f16_e32 v2, v21, v2
	v_fmac_f16_e32 v19, 0x3b9c, v27
	v_add_f16_e32 v21, v1, v4
	v_fma_f16 v22, -0.5, v22, v1
	v_sub_f16_e32 v23, v3, v11
	v_fmac_f16_e32 v15, 0x34f2, v17
	v_fmac_f16_e32 v24, 0x38b4, v26
	v_fmac_f16_e32 v25, 0x34f2, v17
	v_fmac_f16_e32 v19, 0xb8b4, v26
	v_add_f16_e32 v17, v21, v12
	v_fmamk_f16 v21, v23, 0xbb9c, v22
	v_sub_f16_e32 v26, v5, v7
	v_sub_f16_e32 v27, v4, v12
	;; [unrolled: 1-line block ×3, first 2 shown]
	v_fmac_f16_e32 v22, 0x3b9c, v23
	v_lshrrev_b32_e32 v20, 16, v1
	v_add_f16_e32 v30, v4, v13
	v_fmac_f16_e32 v21, 0xb8b4, v26
	v_add_f16_e32 v27, v27, v28
	v_fmac_f16_e32 v22, 0x38b4, v26
	v_add_f16_e32 v17, v17, v8
	v_fmac_f16_e32 v1, -0.5, v30
	v_add_f16_e32 v28, v5, v7
	v_fmac_f16_e32 v21, 0x34f2, v27
	v_fmac_f16_e32 v22, 0x34f2, v27
	v_add_f16_e32 v27, v20, v3
	v_add_f16_e32 v9, v9, v31
	v_fmac_f16_e32 v24, 0x34f2, v2
	v_fmac_f16_e32 v19, 0x34f2, v2
	v_add_f16_e32 v2, v17, v13
	v_fmamk_f16 v17, v26, 0x3b9c, v1
	v_sub_f16_e32 v30, v12, v4
	v_sub_f16_e32 v31, v8, v13
	v_fmac_f16_e32 v1, 0xbb9c, v26
	v_add_f16_e32 v26, v27, v5
	v_fma_f16 v27, -0.5, v28, v20
	v_add_f16_e32 v28, v3, v11
	v_sub_f16_e32 v4, v4, v13
	v_fmac_f16_e32 v17, 0xb8b4, v23
	v_add_f16_e32 v13, v30, v31
	v_fmac_f16_e32 v1, 0x38b4, v23
	v_add_f16_e32 v23, v26, v7
	v_sub_f16_e32 v8, v12, v8
	v_fmac_f16_e32 v20, -0.5, v28
	v_fmamk_f16 v26, v4, 0x3b9c, v27
	v_fmac_f16_e32 v17, 0x34f2, v13
	v_fmac_f16_e32 v1, 0x34f2, v13
	v_add_f16_e32 v12, v23, v11
	v_sub_f16_e32 v13, v3, v5
	v_sub_f16_e32 v23, v11, v7
	v_fmamk_f16 v28, v8, 0xbb9c, v20
	v_sub_f16_e32 v3, v5, v3
	v_sub_f16_e32 v5, v7, v11
	v_fmac_f16_e32 v27, 0xbb9c, v4
	v_fmac_f16_e32 v20, 0x3b9c, v8
	v_add_f16_e32 v9, v9, v34
	v_fmac_f16_e32 v26, 0x38b4, v8
	v_add_f16_e32 v7, v13, v23
	;; [unrolled: 2-line block ×3, first 2 shown]
	v_fmac_f16_e32 v27, 0xb8b4, v8
	v_fmac_f16_e32 v20, 0xb8b4, v4
	v_pack_b32_f16 v4, v9, v14
	v_fmac_f16_e32 v26, 0x34f2, v7
	v_fmac_f16_e32 v28, 0x34f2, v3
	v_fmac_f16_e32 v27, 0x34f2, v7
	v_fmac_f16_e32 v20, 0x34f2, v3
	ds_write_b32 v40, v4
	v_pack_b32_f16 v4, v18, v24
	v_pack_b32_f16 v0, v0, v19
	v_add_nc_u32_e32 v5, 0x500, v40
	v_pack_b32_f16 v6, v6, v25
	v_pack_b32_f16 v3, v10, v15
	;; [unrolled: 1-line block ×5, first 2 shown]
	v_add_nc_u32_e32 v9, 0x200, v29
	v_pack_b32_f16 v1, v1, v20
	v_pack_b32_f16 v10, v22, v27
	v_add_nc_u32_e32 v11, 0x800, v29
	ds_write2_b32 v5, v4, v0 offset0:44 offset1:226
	ds_write_b32 v40, v6 offset:2912
	ds_write2_b32 v40, v2, v3 offset0:91 offset1:182
	ds_write2_b32 v9, v7, v8 offset0:54 offset1:236
	;; [unrolled: 1-line block ×3, first 2 shown]
	s_waitcnt lgkmcnt(0)
	s_barrier
	buffer_gl0_inv
	s_and_b32 exec_lo, exec_lo, vcc_lo
	s_cbranch_execz .LBB0_23
; %bb.22:
	s_clause 0x5
	global_load_dword v10, v38, s[10:11]
	global_load_dword v11, v38, s[10:11] offset:280
	global_load_dword v18, v38, s[10:11] offset:560
	;; [unrolled: 1-line block ×5, first 2 shown]
	ds_read_b32 v22, v40
	v_mad_u64_u32 v[8:9], null, s4, v37, 0
	ds_read2_b32 v[4:5], v40 offset0:70 offset1:140
	v_add_nc_u32_e32 v2, 0x200, v40
	v_mad_u64_u32 v[6:7], null, s6, v16, 0
	v_add_co_u32 v1, s0, s10, v38
	v_add_co_ci_u32_e64 v3, null, s11, 0, s0
	s_clause 0x1
	global_load_dword v12, v38, s[10:11] offset:1680
	global_load_dword v13, v38, s[10:11] offset:1960
	ds_read2_b32 v[23:24], v2 offset0:82 offset1:152
	v_mov_b32_e32 v2, v9
	v_mov_b32_e32 v0, v7
	v_add_nc_u32_e32 v17, 0x400, v40
	s_mov_b32 s18, 0x12012012
	s_mov_b32 s19, 0x3f520120
	v_mad_u64_u32 v[25:26], null, s5, v37, v[2:3]
	s_waitcnt lgkmcnt(2)
	v_lshrrev_b32_e32 v26, 16, v22
	v_mad_u64_u32 v[14:15], null, s7, v16, v[0:1]
	v_add_co_u32 v0, vcc_lo, 0x800, v1
	v_add_co_ci_u32_e32 v1, vcc_lo, 0, v3, vcc_lo
	ds_read2_b32 v[2:3], v17 offset0:94 offset1:164
	v_mov_b32_e32 v9, v25
	s_waitcnt lgkmcnt(2)
	v_lshrrev_b32_e32 v25, 16, v4
	v_lshrrev_b32_e32 v27, 16, v5
	v_mov_b32_e32 v7, v14
	s_waitcnt lgkmcnt(1)
	v_lshrrev_b32_e32 v28, 16, v23
	v_lshrrev_b32_e32 v29, 16, v24
	v_lshlrev_b64 v[8:9], 2, v[8:9]
	s_mul_i32 s0, s5, 0x118
	v_lshlrev_b64 v[6:7], 2, v[6:7]
	s_mul_hi_u32 s20, s4, 0x118
	s_mul_i32 s17, s4, 0x118
	s_add_i32 s20, s20, s0
	s_clause 0x3
	global_load_dword v15, v[0:1], off offset:192
	global_load_dword v16, v[0:1], off offset:472
	;; [unrolled: 1-line block ×4, first 2 shown]
	v_add_co_u32 v6, vcc_lo, s8, v6
	v_add_co_ci_u32_e32 v7, vcc_lo, s9, v7, vcc_lo
	s_waitcnt lgkmcnt(0)
	v_lshrrev_b32_e32 v38, 16, v2
	v_add_co_u32 v6, vcc_lo, v6, v8
	v_add_co_ci_u32_e32 v7, vcc_lo, v7, v9, vcc_lo
	v_add_co_u32 v8, vcc_lo, v6, s17
	v_add_co_ci_u32_e32 v9, vcc_lo, s20, v7, vcc_lo
	s_waitcnt vmcnt(11)
	v_mul_f16_sdwa v30, v26, v10 dst_sel:DWORD dst_unused:UNUSED_PAD src0_sel:DWORD src1_sel:WORD_1
	v_mul_f16_sdwa v31, v22, v10 dst_sel:DWORD dst_unused:UNUSED_PAD src0_sel:DWORD src1_sel:WORD_1
	s_waitcnt vmcnt(10)
	v_mul_f16_sdwa v32, v25, v11 dst_sel:DWORD dst_unused:UNUSED_PAD src0_sel:DWORD src1_sel:WORD_1
	v_mul_f16_sdwa v33, v4, v11 dst_sel:DWORD dst_unused:UNUSED_PAD src0_sel:DWORD src1_sel:WORD_1
	s_waitcnt vmcnt(9)
	v_mul_f16_sdwa v34, v27, v18 dst_sel:DWORD dst_unused:UNUSED_PAD src0_sel:DWORD src1_sel:WORD_1
	v_fmac_f16_e32 v30, v22, v10
	v_fma_f16 v10, v10, v26, -v31
	v_fmac_f16_e32 v32, v4, v11
	v_mul_f16_sdwa v35, v5, v18 dst_sel:DWORD dst_unused:UNUSED_PAD src0_sel:DWORD src1_sel:WORD_1
	s_waitcnt vmcnt(8)
	v_mul_f16_sdwa v36, v28, v19 dst_sel:DWORD dst_unused:UNUSED_PAD src0_sel:DWORD src1_sel:WORD_1
	v_cvt_f32_f16_e32 v4, v30
	v_mul_f16_sdwa v37, v23, v19 dst_sel:DWORD dst_unused:UNUSED_PAD src0_sel:DWORD src1_sel:WORD_1
	v_fmac_f16_e32 v34, v5, v18
	v_cvt_f32_f16_e32 v10, v10
	v_fma_f16 v22, v11, v25, -v33
	v_cvt_f64_f32_e32 v[4:5], v4
	v_fma_f16 v18, v18, v27, -v35
	v_fmac_f16_e32 v36, v23, v19
	v_fma_f16 v25, v19, v28, -v37
	v_cvt_f64_f32_e32 v[10:11], v10
	v_cvt_f32_f16_e32 v19, v32
	s_waitcnt vmcnt(6)
	v_mul_f16_sdwa v42, v38, v21 dst_sel:DWORD dst_unused:UNUSED_PAD src0_sel:DWORD src1_sel:WORD_1
	v_cvt_f32_f16_e32 v22, v22
	v_cvt_f32_f16_e32 v26, v18
	v_mul_f16_sdwa v39, v29, v20 dst_sel:DWORD dst_unused:UNUSED_PAD src0_sel:DWORD src1_sel:WORD_1
	v_cvt_f64_f32_e32 v[18:19], v19
	v_mul_f16_sdwa v43, v2, v21 dst_sel:DWORD dst_unused:UNUSED_PAD src0_sel:DWORD src1_sel:WORD_1
	v_fmac_f16_e32 v42, v2, v21
	v_cvt_f32_f16_e32 v2, v34
	v_cvt_f64_f32_e32 v[22:23], v22
	v_mul_f16_sdwa v41, v24, v20 dst_sel:DWORD dst_unused:UNUSED_PAD src0_sel:DWORD src1_sel:WORD_1
	v_fmac_f16_e32 v39, v24, v20
	v_cvt_f32_f16_e32 v30, v25
	v_cvt_f64_f32_e32 v[24:25], v2
	v_cvt_f32_f16_e32 v28, v36
	v_cvt_f64_f32_e32 v[26:27], v26
	v_fma_f16 v20, v20, v29, -v41
	v_mul_f64 v[4:5], v[4:5], s[18:19]
	v_fma_f16 v2, v21, v38, -v43
	v_cvt_f64_f32_e32 v[28:29], v28
	v_cvt_f32_f16_e32 v32, v39
	v_mul_f64 v[10:11], v[10:11], s[18:19]
	v_cvt_f64_f32_e32 v[30:31], v30
	v_cvt_f32_f16_e32 v20, v20
	v_cvt_f32_f16_e32 v2, v2
	v_cvt_f64_f32_e32 v[32:33], v32
	v_cvt_f32_f16_e32 v36, v42
	v_mul_f64 v[18:19], v[18:19], s[18:19]
	v_cvt_f64_f32_e32 v[34:35], v20
	v_add_co_u32 v20, vcc_lo, v8, s17
	v_mul_f64 v[22:23], v[22:23], s[18:19]
	v_add_co_ci_u32_e32 v21, vcc_lo, s20, v9, vcc_lo
	v_cvt_f64_f32_e32 v[41:42], v2
	v_mul_f64 v[24:25], v[24:25], s[18:19]
	v_add_co_u32 v38, vcc_lo, v20, s17
	v_mul_f64 v[26:27], v[26:27], s[18:19]
	v_and_or_b32 v2, 0x1ff, v5, v4
	v_add_co_ci_u32_e32 v39, vcc_lo, s20, v21, vcc_lo
	v_cvt_f64_f32_e32 v[36:37], v36
	v_and_or_b32 v10, 0x1ff, v11, v10
	v_cmp_ne_u32_e32 vcc_lo, 0, v2
	v_mul_f64 v[28:29], v[28:29], s[18:19]
	v_mul_f64 v[30:31], v[30:31], s[18:19]
	;; [unrolled: 1-line block ×3, first 2 shown]
	v_lshrrev_b32_e32 v4, 8, v5
	v_and_or_b32 v18, 0x1ff, v19, v18
	v_cndmask_b32_e64 v2, 0, 1, vcc_lo
	v_cmp_ne_u32_e32 vcc_lo, 0, v10
	v_mul_f64 v[34:35], v[34:35], s[18:19]
	v_and_or_b32 v22, 0x1ff, v23, v22
	v_bfe_u32 v43, v5, 20, 11
	v_lshrrev_b32_e32 v44, 8, v11
	v_cndmask_b32_e64 v10, 0, 1, vcc_lo
	v_cmp_ne_u32_e32 vcc_lo, 0, v18
	v_and_or_b32 v24, 0x1ff, v25, v24
	v_bfe_u32 v45, v11, 20, 11
	v_and_or_b32 v26, 0x1ff, v27, v26
	v_and_or_b32 v2, 0xffe, v4, v2
	v_cndmask_b32_e64 v18, 0, 1, vcc_lo
	v_cmp_ne_u32_e32 vcc_lo, 0, v22
	v_mul_f64 v[36:37], v[36:37], s[18:19]
	v_lshrrev_b32_e32 v46, 8, v19
	v_bfe_u32 v47, v19, 20, 11
	v_and_or_b32 v28, 0x1ff, v29, v28
	v_cndmask_b32_e64 v22, 0, 1, vcc_lo
	v_cmp_ne_u32_e32 vcc_lo, 0, v24
	v_and_or_b32 v30, 0x1ff, v31, v30
	v_and_or_b32 v32, 0x1ff, v33, v32
	v_bfe_u32 v49, v23, 20, 11
	v_sub_nc_u32_e32 v62, 0x3f1, v43
	v_cndmask_b32_e64 v24, 0, 1, vcc_lo
	v_cmp_ne_u32_e32 vcc_lo, 0, v26
	v_and_or_b32 v34, 0x1ff, v35, v34
	v_add_nc_u32_e32 v43, 0xfffffc10, v43
	v_sub_nc_u32_e32 v63, 0x3f1, v45
	v_and_or_b32 v10, 0xffe, v44, v10
	v_cndmask_b32_e64 v26, 0, 1, vcc_lo
	v_cmp_ne_u32_e32 vcc_lo, 0, v28
	v_lshrrev_b32_e32 v48, 8, v23
	v_bfe_u32 v51, v25, 20, 11
	v_bfe_u32 v53, v27, 20, 11
	v_add_nc_u32_e32 v45, 0xfffffc10, v45
	v_cndmask_b32_e64 v28, 0, 1, vcc_lo
	v_cmp_ne_u32_e32 vcc_lo, 0, v30
	v_and_or_b32 v36, 0x1ff, v37, v36
	v_sub_nc_u32_e32 v64, 0x3f1, v47
	v_sub_nc_u32_e32 v65, 0x3f1, v49
	v_med3_i32 v4, v62, 0, 13
	v_cndmask_b32_e64 v30, 0, 1, vcc_lo
	v_cmp_ne_u32_e32 vcc_lo, 0, v32
	v_med3_i32 v44, v63, 0, 13
	v_and_or_b32 v18, 0xffe, v46, v18
	v_or_b32_e32 v62, 0x1000, v2
	v_lshl_or_b32 v63, v43, 12, v2
	v_cndmask_b32_e64 v32, 0, 1, vcc_lo
	v_cmp_ne_u32_e32 vcc_lo, 0, v34
	v_lshrrev_b32_e32 v50, 8, v25
	v_lshrrev_b32_e32 v52, 8, v27
	v_bfe_u32 v55, v29, 20, 11
	v_bfe_u32 v57, v31, 20, 11
	v_cndmask_b32_e64 v34, 0, 1, vcc_lo
	v_cmp_ne_u32_e32 vcc_lo, 0, v36
	v_add_nc_u32_e32 v47, 0xfffffc10, v47
	v_sub_nc_u32_e32 v66, 0x3f1, v51
	v_sub_nc_u32_e32 v67, 0x3f1, v53
	v_med3_i32 v46, v64, 0, 13
	v_cndmask_b32_e64 v36, 0, 1, vcc_lo
	v_cmp_ne_u32_e32 vcc_lo, 0, v2
	v_and_or_b32 v22, 0xffe, v48, v22
	v_med3_i32 v48, v65, 0, 13
	v_or_b32_e32 v64, 0x1000, v10
	v_lshl_or_b32 v65, v45, 12, v10
	v_cndmask_b32_e64 v2, 0, 1, vcc_lo
	v_cmp_ne_u32_e32 vcc_lo, 0, v10
	v_lshrrev_b32_e32 v54, 8, v29
	v_lshrrev_b32_e32 v56, 8, v31
	v_bfe_u32 v59, v33, 20, 11
	v_bfe_u32 v61, v35, 20, 11
	v_cndmask_b32_e64 v10, 0, 1, vcc_lo
	v_cmp_ne_u32_e32 vcc_lo, 0, v18
	v_add_nc_u32_e32 v49, 0xfffffc10, v49
	v_sub_nc_u32_e32 v68, 0x3f1, v55
	v_sub_nc_u32_e32 v69, 0x3f1, v57
	v_and_or_b32 v24, 0xffe, v50, v24
	v_med3_i32 v50, v66, 0, 13
	v_and_or_b32 v26, 0xffe, v52, v26
	v_med3_i32 v52, v67, 0, 13
	v_or_b32_e32 v66, 0x1000, v18
	v_lshl_or_b32 v67, v47, 12, v18
	v_cndmask_b32_e64 v18, 0, 1, vcc_lo
	v_cmp_ne_u32_e32 vcc_lo, 0, v22
	v_lshrrev_b32_e32 v58, 8, v33
	v_lshrrev_b32_e32 v60, 8, v35
	v_add_nc_u32_e32 v51, 0xfffffc10, v51
	v_sub_nc_u32_e32 v70, 0x3f1, v59
	v_sub_nc_u32_e32 v71, 0x3f1, v61
	v_and_or_b32 v28, 0xffe, v54, v28
	v_med3_i32 v54, v68, 0, 13
	v_and_or_b32 v30, 0xffe, v56, v30
	v_med3_i32 v56, v69, 0, 13
	v_or_b32_e32 v68, 0x1000, v22
	v_lshl_or_b32 v69, v49, 12, v22
	v_cndmask_b32_e64 v22, 0, 1, vcc_lo
	v_cmp_ne_u32_e32 vcc_lo, 0, v24
	v_add_nc_u32_e32 v53, 0xfffffc10, v53
	v_and_or_b32 v32, 0xffe, v58, v32
	v_med3_i32 v58, v70, 0, 13
	v_and_or_b32 v34, 0xffe, v60, v34
	v_med3_i32 v60, v71, 0, 13
	v_or_b32_e32 v70, 0x1000, v24
	v_lshl_or_b32 v71, v51, 12, v24
	v_cndmask_b32_e64 v24, 0, 1, vcc_lo
	v_cmp_ne_u32_e32 vcc_lo, 0, v26
	v_add_nc_u32_e32 v55, 0xfffffc10, v55
	v_or_b32_e32 v72, 0x1000, v26
	v_lshl_or_b32 v73, v53, 12, v26
	v_add_nc_u32_e32 v57, 0xfffffc10, v57
	v_cndmask_b32_e64 v26, 0, 1, vcc_lo
	v_cmp_ne_u32_e32 vcc_lo, 0, v28
	v_or_b32_e32 v74, 0x1000, v28
	v_lshl_or_b32 v75, v55, 12, v28
	v_lshrrev_b32_e32 v82, v4, v62
	v_add_nc_u32_e32 v59, 0xfffffc10, v59
	v_cndmask_b32_e64 v28, 0, 1, vcc_lo
	v_cmp_ne_u32_e32 vcc_lo, 0, v30
	v_or_b32_e32 v76, 0x1000, v30
	v_lshl_or_b32 v77, v57, 12, v30
	v_lshrrev_b32_e32 v83, v44, v64
	v_lshlrev_b32_e32 v4, v4, v82
	v_cndmask_b32_e64 v30, 0, 1, vcc_lo
	v_cmp_ne_u32_e32 vcc_lo, 0, v32
	v_or_b32_e32 v78, 0x1000, v32
	v_lshl_or_b32 v79, v59, 12, v32
	v_lshrrev_b32_e32 v84, v46, v66
	v_lshlrev_b32_e32 v44, v44, v83
	v_cndmask_b32_e64 v32, 0, 1, vcc_lo
	v_cmp_ne_u32_e32 vcc_lo, v4, v62
	v_lshrrev_b32_e32 v85, v48, v68
	v_lshlrev_b32_e32 v46, v46, v84
	v_lshrrev_b32_e32 v86, v50, v70
	v_lshrrev_b32_e32 v87, v52, v72
	v_cndmask_b32_e64 v4, 0, 1, vcc_lo
	v_cmp_ne_u32_e32 vcc_lo, v44, v64
	v_lshlrev_b32_e32 v48, v48, v85
	v_lshlrev_b32_e32 v50, v50, v86
	v_lshrrev_b32_e32 v88, v54, v74
	v_lshlrev_b32_e32 v52, v52, v87
	v_cndmask_b32_e64 v44, 0, 1, vcc_lo
	v_cmp_ne_u32_e32 vcc_lo, v46, v66
	v_lshrrev_b32_e32 v89, v56, v76
	v_lshlrev_b32_e32 v54, v54, v88
	v_or_b32_e32 v80, 0x1000, v34
	v_lshrrev_b32_e32 v90, v58, v78
	v_cndmask_b32_e64 v46, 0, 1, vcc_lo
	v_cmp_ne_u32_e32 vcc_lo, v48, v68
	v_lshlrev_b32_e32 v56, v56, v89
	v_lshrrev_b32_e32 v91, v60, v80
	v_lshlrev_b32_e32 v58, v58, v90
	v_or_b32_e32 v4, v82, v4
	v_cndmask_b32_e64 v48, 0, 1, vcc_lo
	v_cmp_ne_u32_e32 vcc_lo, v50, v70
	v_lshlrev_b32_e32 v60, v60, v91
	v_or_b32_e32 v44, v83, v44
	v_or_b32_e32 v46, v84, v46
	;; [unrolled: 1-line block ×3, first 2 shown]
	v_cndmask_b32_e64 v50, 0, 1, vcc_lo
	v_cmp_ne_u32_e32 vcc_lo, v52, v72
	v_add_nc_u32_e32 v61, 0xfffffc10, v61
	v_lshl_or_b32 v2, v2, 9, 0x7c00
	v_lshl_or_b32 v10, v10, 9, 0x7c00
	v_or_b32_e32 v50, v86, v50
	v_cndmask_b32_e64 v52, 0, 1, vcc_lo
	v_cmp_ne_u32_e32 vcc_lo, v54, v74
	v_lshl_or_b32 v81, v61, 12, v34
	v_lshl_or_b32 v18, v18, 9, 0x7c00
	;; [unrolled: 1-line block ×3, first 2 shown]
	v_or_b32_e32 v52, v87, v52
	v_cndmask_b32_e64 v54, 0, 1, vcc_lo
	v_cmp_ne_u32_e32 vcc_lo, v56, v76
	v_lshl_or_b32 v24, v24, 9, 0x7c00
	v_lshl_or_b32 v26, v26, 9, 0x7c00
	v_lshrrev_b32_e32 v5, 16, v5
	v_or_b32_e32 v54, v88, v54
	v_cndmask_b32_e64 v56, 0, 1, vcc_lo
	v_cmp_ne_u32_e32 vcc_lo, v58, v78
	v_lshrrev_b32_e32 v19, 16, v19
	v_lshl_or_b32 v28, v28, 9, 0x7c00
	v_lshrrev_b32_e32 v11, 16, v11
	v_or_b32_e32 v56, v89, v56
	v_cndmask_b32_e64 v58, 0, 1, vcc_lo
	v_cmp_ne_u32_e32 vcc_lo, v60, v80
	v_lshrrev_b32_e32 v23, 16, v23
	v_lshl_or_b32 v30, v30, 9, 0x7c00
	v_lshrrev_b32_e32 v25, 16, v25
	v_or_b32_e32 v58, v90, v58
	v_cndmask_b32_e64 v60, 0, 1, vcc_lo
	v_cmp_gt_i32_e32 vcc_lo, 1, v43
	v_lshrrev_b32_e32 v27, 16, v27
	v_lshrrev_b32_e32 v29, 16, v29
	v_lshl_or_b32 v32, v32, 9, 0x7c00
	v_or_b32_e32 v60, v91, v60
	v_cndmask_b32_e32 v4, v63, v4, vcc_lo
	v_cmp_gt_i32_e32 vcc_lo, 1, v45
	v_lshrrev_b32_e32 v31, 16, v31
	v_and_b32_e32 v62, 7, v4
	v_cndmask_b32_e32 v44, v65, v44, vcc_lo
	v_cmp_gt_i32_e32 vcc_lo, 1, v47
	v_lshrrev_b32_e32 v4, 2, v4
	v_cmp_eq_u32_e64 s0, 3, v62
	v_and_b32_e32 v63, 7, v44
	v_cndmask_b32_e32 v46, v67, v46, vcc_lo
	v_cmp_gt_i32_e32 vcc_lo, 1, v49
	v_lshrrev_b32_e32 v44, 2, v44
	v_cmp_lt_i32_e64 s1, 5, v63
	v_and_b32_e32 v64, 7, v46
	v_cndmask_b32_e32 v48, v69, v48, vcc_lo
	v_cmp_gt_i32_e32 vcc_lo, 1, v51
	v_cmp_eq_u32_e64 s2, 3, v63
	v_lshrrev_b32_e32 v46, 2, v46
	v_cmp_lt_i32_e64 s3, 5, v64
	v_and_b32_e32 v65, 7, v48
	v_cndmask_b32_e32 v50, v71, v50, vcc_lo
	v_cmp_gt_i32_e32 vcc_lo, 1, v53
	v_cmp_eq_u32_e64 s4, 3, v64
	;; [unrolled: 6-line block ×6, first 2 shown]
	v_lshrrev_b32_e32 v56, 2, v56
	v_cmp_lt_i32_e64 s13, 5, v69
	v_and_b32_e32 v70, 7, v58
	v_cndmask_b32_e32 v60, v81, v60, vcc_lo
	v_cmp_lt_i32_e32 vcc_lo, 5, v62
	v_cmp_eq_u32_e64 s14, 3, v69
	v_lshrrev_b32_e32 v58, 2, v58
	v_cmp_lt_i32_e64 s15, 5, v70
	v_cmp_eq_u32_e64 s16, 3, v70
	s_or_b32 vcc_lo, s0, vcc_lo
	v_and_b32_e32 v71, 7, v60
	v_add_co_ci_u32_e32 v4, vcc_lo, 0, v4, vcc_lo
	s_or_b32 vcc_lo, s2, s1
	v_add_co_ci_u32_e32 v44, vcc_lo, 0, v44, vcc_lo
	s_or_b32 vcc_lo, s4, s3
	v_cmp_eq_u32_e64 s0, 3, v71
	v_add_co_ci_u32_e32 v46, vcc_lo, 0, v46, vcc_lo
	s_or_b32 vcc_lo, s6, s5
	v_add_co_ci_u32_e32 v48, vcc_lo, 0, v48, vcc_lo
	s_or_b32 vcc_lo, s8, s7
	;; [unrolled: 2-line block ×6, first 2 shown]
	v_add_co_ci_u32_e32 v58, vcc_lo, 0, v58, vcc_lo
	v_cmp_gt_i32_e32 vcc_lo, 31, v43
	v_cndmask_b32_e32 v4, 0x7c00, v4, vcc_lo
	v_cmp_gt_i32_e32 vcc_lo, 31, v45
	v_cndmask_b32_e32 v44, 0x7c00, v44, vcc_lo
	;; [unrolled: 2-line block ×8, first 2 shown]
	v_cmp_eq_u32_e32 vcc_lo, 0x40f, v43
	v_cndmask_b32_e32 v2, v4, v2, vcc_lo
	v_cmp_eq_u32_e32 vcc_lo, 0x40f, v45
	v_and_or_b32 v2, 0x8000, v5, v2
	v_cndmask_b32_e32 v4, v44, v10, vcc_lo
	v_cmp_eq_u32_e32 vcc_lo, 0x40f, v47
	v_and_b32_e32 v2, 0xffff, v2
	v_and_or_b32 v4, 0x8000, v11, v4
	v_cndmask_b32_e32 v10, v46, v18, vcc_lo
	v_cmp_eq_u32_e32 vcc_lo, 0x40f, v49
	v_lshl_or_b32 v2, v4, 16, v2
	v_and_or_b32 v5, 0x8000, v19, v10
	v_cndmask_b32_e32 v18, v48, v22, vcc_lo
	v_cmp_eq_u32_e32 vcc_lo, 0x40f, v51
	v_and_b32_e32 v5, 0xffff, v5
	v_and_or_b32 v10, 0x8000, v23, v18
	v_cndmask_b32_e32 v22, v50, v24, vcc_lo
	v_cmp_eq_u32_e32 vcc_lo, 0x40f, v53
	v_lshrrev_b32_e32 v23, 16, v3
	v_lshl_or_b32 v4, v10, 16, v5
	v_and_or_b32 v11, 0x8000, v25, v22
	v_cndmask_b32_e32 v24, v52, v26, vcc_lo
	v_cmp_eq_u32_e32 vcc_lo, 0x40f, v55
	global_store_dword v[6:7], v2, off
	global_store_dword v[8:9], v4, off
	v_lshrrev_b32_e32 v2, 8, v37
	v_and_b32_e32 v11, 0xffff, v11
	v_and_or_b32 v18, 0x8000, v27, v24
	v_cndmask_b32_e32 v26, v54, v28, vcc_lo
	v_cmp_eq_u32_e32 vcc_lo, 0x40f, v57
	v_bfe_u32 v6, v37, 20, 11
	v_lshrrev_b32_e32 v9, 2, v60
	v_lshl_or_b32 v10, v18, 16, v11
	v_and_or_b32 v19, 0x8000, v29, v26
	v_cndmask_b32_e32 v28, v56, v30, vcc_lo
	v_cmp_gt_i32_e32 vcc_lo, 31, v59
	v_and_or_b32 v18, 0xffe, v2, v36
	v_sub_nc_u32_e32 v2, 0x3f1, v6
	v_and_b32_e32 v19, 0xffff, v19
	v_and_or_b32 v22, 0x8000, v31, v28
	v_cndmask_b32_e32 v5, 0x7c00, v58, vcc_lo
	v_cmp_eq_u32_e32 vcc_lo, 0x40f, v59
	v_med3_i32 v2, v2, 0, 13
	s_waitcnt vmcnt(5)
	v_mul_f16_sdwa v25, v23, v12 dst_sel:DWORD dst_unused:UNUSED_PAD src0_sel:DWORD src1_sel:WORD_1
	v_lshl_or_b32 v11, v22, 16, v19
	v_or_b32_e32 v19, 0x1000, v18
	v_cndmask_b32_e32 v7, v5, v32, vcc_lo
	v_cmp_lt_i32_e32 vcc_lo, 5, v71
	v_mul_f64 v[4:5], v[41:42], s[18:19]
	v_lshrrev_b32_e32 v8, 16, v33
	v_lshrrev_b32_e32 v24, v2, v19
	v_fmac_f16_e32 v25, v3, v12
	s_or_b32 vcc_lo, s0, vcc_lo
	global_store_dword v[20:21], v10, off
	global_store_dword v[38:39], v11, off
	v_add_co_ci_u32_e32 v9, vcc_lo, 0, v9, vcc_lo
	v_cmp_ne_u32_e32 vcc_lo, 0, v34
	v_lshlrev_b32_e32 v2, v2, v24
	v_and_or_b32 v8, 0x8000, v8, v7
	v_cvt_f32_f16_e32 v7, v25
	v_mul_f16_sdwa v21, v3, v12 dst_sel:DWORD dst_unused:UNUSED_PAD src0_sel:DWORD src1_sel:WORD_1
	v_cndmask_b32_e64 v22, 0, 1, vcc_lo
	v_cmp_gt_i32_e32 vcc_lo, 31, v61
	v_and_b32_e32 v8, 0xffff, v8
	v_lshl_or_b32 v22, v22, 9, 0x7c00
	v_cndmask_b32_e32 v9, 0x7c00, v9, vcc_lo
	v_cmp_eq_u32_e32 vcc_lo, 0x40f, v61
	v_and_or_b32 v4, 0x1ff, v5, v4
	v_lshrrev_b32_e32 v25, 8, v5
	v_bfe_u32 v26, v5, 20, 11
	v_cndmask_b32_e32 v9, v9, v22, vcc_lo
	v_cmp_ne_u32_e32 vcc_lo, v2, v19
	v_add_nc_u32_e32 v19, 0xfffffc10, v6
	v_cvt_f64_f32_e32 v[6:7], v7
	v_lshrrev_b32_e32 v22, 16, v35
	v_cndmask_b32_e64 v2, 0, 1, vcc_lo
	v_cmp_ne_u32_e32 vcc_lo, 0, v4
	v_and_or_b32 v9, 0x8000, v22, v9
	v_lshl_or_b32 v22, v19, 12, v18
	v_or_b32_e32 v2, v24, v2
	v_cndmask_b32_e64 v4, 0, 1, vcc_lo
	v_sub_nc_u32_e32 v24, 0x3f1, v26
	v_cmp_gt_i32_e32 vcc_lo, 1, v19
	v_lshl_or_b32 v20, v9, 16, v8
	v_and_or_b32 v4, 0xffe, v25, v4
	v_med3_i32 v24, v24, 0, 13
	v_cndmask_b32_e32 v22, v22, v2, vcc_lo
	v_add_co_u32 v8, vcc_lo, v38, s17
	v_or_b32_e32 v25, 0x1000, v4
	v_add_co_ci_u32_e32 v9, vcc_lo, s20, v39, vcc_lo
	v_and_b32_e32 v10, 7, v22
	v_mul_f64 v[2:3], v[6:7], s[18:19]
	v_lshrrev_b32_e32 v11, v24, v25
	v_fma_f16 v7, v12, v23, -v21
	v_add_nc_u32_e32 v12, 0xfffffc10, v26
	v_cmp_lt_i32_e32 vcc_lo, 5, v10
	v_cmp_eq_u32_e64 s0, 3, v10
	v_lshlrev_b32_e32 v6, v24, v11
	v_lshrrev_b32_e32 v10, 2, v22
	v_cvt_f32_f16_e32 v7, v7
	v_add_nc_u32_e32 v21, 0x600, v40
	s_or_b32 vcc_lo, s0, vcc_lo
	v_cmp_ne_u32_e64 s1, v6, v25
	v_add_co_ci_u32_e32 v22, vcc_lo, 0, v10, vcc_lo
	v_cmp_ne_u32_e32 vcc_lo, 0, v18
	v_lshl_or_b32 v24, v12, 12, v4
	v_cndmask_b32_e64 v6, 0, 1, s1
	global_store_dword v[8:9], v20, off
	v_cndmask_b32_e64 v18, 0, 1, vcc_lo
	v_cmp_gt_i32_e32 vcc_lo, 1, v12
	v_or_b32_e32 v23, v11, v6
	v_cvt_f64_f32_e32 v[6:7], v7
	ds_read2_b32 v[10:11], v21 offset0:106 offset1:176
	v_and_or_b32 v2, 0x1ff, v3, v2
	v_lshl_or_b32 v18, v18, 9, 0x7c00
	v_cndmask_b32_e32 v21, v24, v23, vcc_lo
	v_cmp_gt_i32_e32 vcc_lo, 31, v19
	v_lshrrev_b32_e32 v24, 8, v3
	v_bfe_u32 v25, v3, 20, 11
	v_and_b32_e32 v23, 7, v21
	v_cndmask_b32_e32 v22, 0x7c00, v22, vcc_lo
	v_cmp_ne_u32_e32 vcc_lo, 0, v2
	v_lshrrev_b32_e32 v21, 2, v21
	v_cmp_eq_u32_e64 s0, 3, v23
	v_cndmask_b32_e64 v2, 0, 1, vcc_lo
	v_cmp_eq_u32_e32 vcc_lo, 0x40f, v19
	v_lshrrev_b32_e32 v19, 16, v37
	v_and_or_b32 v2, 0xffe, v24, v2
	v_cndmask_b32_e32 v18, v22, v18, vcc_lo
	v_cmp_lt_i32_e32 vcc_lo, 5, v23
	v_mul_f64 v[6:7], v[6:7], s[18:19]
	v_sub_nc_u32_e32 v22, 0x3f1, v25
	s_waitcnt lgkmcnt(0)
	v_lshrrev_b32_e32 v24, 16, v10
	v_or_b32_e32 v23, 0x1000, v2
	s_or_b32 vcc_lo, s0, vcc_lo
	v_and_or_b32 v18, 0x8000, v19, v18
	v_add_co_ci_u32_e32 v21, vcc_lo, 0, v21, vcc_lo
	v_med3_i32 v22, v22, 0, 13
	v_cmp_ne_u32_e32 vcc_lo, 0, v4
	s_waitcnt vmcnt(4)
	v_mul_f16_sdwa v26, v24, v13 dst_sel:DWORD dst_unused:UNUSED_PAD src0_sel:DWORD src1_sel:WORD_1
	v_and_b32_e32 v18, 0xffff, v18
	v_lshrrev_b32_e32 v27, v22, v23
	v_cndmask_b32_e64 v4, 0, 1, vcc_lo
	v_cmp_gt_i32_e32 vcc_lo, 31, v12
	v_fmac_f16_e32 v26, v10, v13
	v_mul_f16_sdwa v10, v10, v13 dst_sel:DWORD dst_unused:UNUSED_PAD src0_sel:DWORD src1_sel:WORD_1
	v_lshlrev_b32_e32 v19, v22, v27
	v_lshl_or_b32 v4, v4, 9, 0x7c00
	v_cndmask_b32_e32 v21, 0x7c00, v21, vcc_lo
	v_cmp_eq_u32_e32 vcc_lo, 0x40f, v12
	v_cvt_f32_f16_e32 v22, v26
	v_and_or_b32 v6, 0x1ff, v7, v6
	v_fma_f16 v10, v13, v24, -v10
	v_lshrrev_b32_e32 v24, 16, v3
	v_cndmask_b32_e32 v12, v21, v4, vcc_lo
	v_cmp_ne_u32_e32 vcc_lo, v19, v23
	v_lshrrev_b32_e32 v21, 16, v5
	v_cvt_f64_f32_e32 v[4:5], v22
	v_add_nc_u32_e32 v22, 0xfffffc10, v25
	v_lshrrev_b32_e32 v23, 8, v7
	v_cndmask_b32_e64 v19, 0, 1, vcc_lo
	v_cmp_ne_u32_e32 vcc_lo, 0, v6
	v_bfe_u32 v25, v7, 20, 11
	v_and_or_b32 v12, 0x8000, v21, v12
	v_lshl_or_b32 v21, v22, 12, v2
	v_or_b32_e32 v19, v27, v19
	v_cndmask_b32_e64 v6, 0, 1, vcc_lo
	v_cmp_gt_i32_e32 vcc_lo, 1, v22
	v_lshl_or_b32 v18, v12, 16, v18
	v_cvt_f32_f16_e32 v10, v10
	v_lshrrev_b32_e32 v7, 16, v7
	v_and_or_b32 v6, 0xffe, v23, v6
	v_sub_nc_u32_e32 v23, 0x3f1, v25
	v_cndmask_b32_e32 v19, v21, v19, vcc_lo
	v_add_co_u32 v8, vcc_lo, v8, s17
	v_or_b32_e32 v21, 0x1000, v6
	v_med3_i32 v23, v23, 0, 13
	v_and_b32_e32 v12, 7, v19
	v_mul_f64 v[4:5], v[4:5], s[18:19]
	v_add_co_ci_u32_e32 v9, vcc_lo, s20, v9, vcc_lo
	v_lshrrev_b32_e32 v20, v23, v21
	v_cmp_lt_i32_e32 vcc_lo, 5, v12
	v_cmp_eq_u32_e64 s0, 3, v12
	v_lshrrev_b32_e32 v19, 2, v19
	global_store_dword v[8:9], v18, off
	v_lshlrev_b32_e32 v13, v23, v20
	v_add_nc_u32_e32 v23, 0xfffffc10, v25
	s_or_b32 vcc_lo, s0, vcc_lo
	v_cmp_ne_u32_e64 s1, v13, v21
	v_cvt_f64_f32_e32 v[12:13], v10
	v_add_co_ci_u32_e32 v10, vcc_lo, 0, v19, vcc_lo
	v_cmp_ne_u32_e32 vcc_lo, 0, v2
	v_cndmask_b32_e64 v21, 0, 1, s1
	v_cndmask_b32_e64 v2, 0, 1, vcc_lo
	v_cmp_gt_i32_e32 vcc_lo, 31, v22
	v_or_b32_e32 v19, v20, v21
	v_lshl_or_b32 v20, v23, 12, v6
	v_and_or_b32 v4, 0x1ff, v5, v4
	v_lshl_or_b32 v2, v2, 9, 0x7c00
	v_cndmask_b32_e32 v10, 0x7c00, v10, vcc_lo
	v_cmp_gt_i32_e32 vcc_lo, 1, v23
	v_bfe_u32 v21, v5, 20, 11
	v_cndmask_b32_e32 v19, v20, v19, vcc_lo
	v_cmp_ne_u32_e32 vcc_lo, 0, v4
	v_lshrrev_b32_e32 v20, 8, v5
	v_cndmask_b32_e64 v4, 0, 1, vcc_lo
	v_cmp_eq_u32_e32 vcc_lo, 0x40f, v22
	v_and_b32_e32 v22, 7, v19
	v_and_or_b32 v4, 0xffe, v20, v4
	v_cndmask_b32_e32 v10, v10, v2, vcc_lo
	v_cmp_lt_i32_e32 vcc_lo, 5, v22
	v_cmp_eq_u32_e64 s0, 3, v22
	v_mul_f64 v[2:3], v[12:13], s[18:19]
	v_lshrrev_b32_e32 v12, 2, v19
	v_sub_nc_u32_e32 v20, 0x3f1, v21
	v_or_b32_e32 v13, 0x1000, v4
	s_or_b32 vcc_lo, s0, vcc_lo
	v_and_or_b32 v10, 0x8000, v24, v10
	v_add_co_ci_u32_e32 v12, vcc_lo, 0, v12, vcc_lo
	v_med3_i32 v19, v20, 0, 13
	v_cmp_ne_u32_e32 vcc_lo, 0, v6
	v_lshrrev_b32_e32 v20, 16, v11
	v_add_nc_u32_e32 v21, 0xfffffc10, v21
	v_and_b32_e32 v10, 0xffff, v10
	v_lshrrev_b32_e32 v22, v19, v13
	v_cndmask_b32_e64 v6, 0, 1, vcc_lo
	v_cmp_gt_i32_e32 vcc_lo, 31, v23
	s_waitcnt vmcnt(3)
	v_mul_f16_sdwa v25, v20, v15 dst_sel:DWORD dst_unused:UNUSED_PAD src0_sel:DWORD src1_sel:WORD_1
	v_lshlrev_b32_e32 v19, v19, v22
	v_lshl_or_b32 v6, v6, 9, 0x7c00
	v_cndmask_b32_e32 v12, 0x7c00, v12, vcc_lo
	v_cmp_eq_u32_e32 vcc_lo, 0x40f, v23
	v_and_or_b32 v2, 0x1ff, v3, v2
	v_fmac_f16_e32 v25, v11, v15
	v_lshrrev_b32_e32 v23, 8, v3
	v_bfe_u32 v24, v3, 20, 11
	v_cndmask_b32_e32 v6, v12, v6, vcc_lo
	v_cmp_ne_u32_e32 vcc_lo, v19, v13
	v_cvt_f32_f16_e32 v12, v25
	v_mul_f16_sdwa v11, v11, v15 dst_sel:DWORD dst_unused:UNUSED_PAD src0_sel:DWORD src1_sel:WORD_1
	v_lshrrev_b32_e32 v3, 16, v3
	v_and_or_b32 v6, 0x8000, v7, v6
	v_cndmask_b32_e64 v19, 0, 1, vcc_lo
	v_cmp_ne_u32_e32 vcc_lo, 0, v2
	v_cvt_f64_f32_e32 v[12:13], v12
	v_lshl_or_b32 v25, v6, 16, v10
	v_or_b32_e32 v19, v22, v19
	v_cndmask_b32_e64 v2, 0, 1, vcc_lo
	v_lshl_or_b32 v22, v21, 12, v4
	v_cmp_gt_i32_e32 vcc_lo, 1, v21
	v_fma_f16 v10, v15, v20, -v11
	v_add_nc_u32_e32 v20, 0xfffffc10, v24
	v_and_or_b32 v2, 0xffe, v23, v2
	v_sub_nc_u32_e32 v23, 0x3f1, v24
	v_cndmask_b32_e32 v19, v22, v19, vcc_lo
	v_or_b32_e32 v22, 0x1000, v2
	v_med3_i32 v7, v23, 0, 13
	v_and_b32_e32 v23, 7, v19
	v_lshrrev_b32_e32 v15, 2, v19
	v_lshrrev_b32_e32 v18, v7, v22
	v_cmp_lt_i32_e32 vcc_lo, 5, v23
	v_cmp_eq_u32_e64 s0, 3, v23
	v_lshlrev_b32_e32 v11, v7, v18
	v_mul_f64 v[6:7], v[12:13], s[18:19]
	v_add_nc_u32_e32 v12, 0x800, v40
	v_cvt_f32_f16_e32 v13, v10
	s_or_b32 vcc_lo, s0, vcc_lo
	v_cmp_ne_u32_e64 s1, v11, v22
	v_add_co_ci_u32_e32 v15, vcc_lo, 0, v15, vcc_lo
	ds_read2_b32 v[10:11], v12 offset0:118 offset1:188
	v_add_co_u32 v8, vcc_lo, v8, s17
	v_cndmask_b32_e64 v19, 0, 1, s1
	v_add_co_ci_u32_e32 v9, vcc_lo, s20, v9, vcc_lo
	v_cmp_gt_i32_e32 vcc_lo, 1, v20
	v_cvt_f64_f32_e32 v[12:13], v13
	v_or_b32_e32 v18, v18, v19
	v_lshl_or_b32 v19, v20, 12, v2
	global_store_dword v[8:9], v25, off
	v_cndmask_b32_e32 v18, v19, v18, vcc_lo
	v_cmp_gt_i32_e32 vcc_lo, 31, v21
	v_and_or_b32 v6, 0x1ff, v7, v6
	v_lshrrev_b32_e32 v23, 8, v7
	v_bfe_u32 v24, v7, 20, 11
	v_and_b32_e32 v19, 7, v18
	v_cndmask_b32_e32 v15, 0x7c00, v15, vcc_lo
	v_cmp_ne_u32_e32 vcc_lo, 0, v4
	s_waitcnt lgkmcnt(0)
	v_lshrrev_b32_e32 v22, 16, v10
	v_lshrrev_b32_e32 v18, 2, v18
	v_cmp_eq_u32_e64 s0, 3, v19
	v_cndmask_b32_e64 v4, 0, 1, vcc_lo
	v_cmp_ne_u32_e32 vcc_lo, 0, v6
	s_waitcnt vmcnt(2)
	v_mul_f16_sdwa v26, v22, v16 dst_sel:DWORD dst_unused:UNUSED_PAD src0_sel:DWORD src1_sel:WORD_1
	v_mul_f64 v[12:13], v[12:13], s[18:19]
	v_lshl_or_b32 v4, v4, 9, 0x7c00
	v_cndmask_b32_e64 v6, 0, 1, vcc_lo
	v_cmp_lt_i32_e32 vcc_lo, 5, v19
	v_fmac_f16_e32 v26, v10, v16
	v_and_or_b32 v6, 0xffe, v23, v6
	v_sub_nc_u32_e32 v23, 0x3f1, v24
	s_or_b32 vcc_lo, s0, vcc_lo
	v_cvt_f32_f16_e32 v19, v26
	v_add_co_ci_u32_e32 v26, vcc_lo, 0, v18, vcc_lo
	v_or_b32_e32 v27, 0x1000, v6
	v_med3_i32 v23, v23, 0, 13
	v_cmp_eq_u32_e32 vcc_lo, 0x40f, v21
	v_cvt_f64_f32_e32 v[18:19], v19
	v_lshrrev_b32_e32 v21, 16, v5
	v_lshrrev_b32_e32 v28, v23, v27
	v_cndmask_b32_e32 v15, v15, v4, vcc_lo
	v_cmp_gt_i32_e32 vcc_lo, 31, v20
	v_and_or_b32 v5, 0x1ff, v13, v12
	v_add_nc_u32_e32 v12, 0xfffffc10, v24
	v_lshlrev_b32_e32 v4, v23, v28
	v_lshrrev_b32_e32 v24, 8, v13
	v_cndmask_b32_e32 v23, 0x7c00, v26, vcc_lo
	v_cmp_ne_u32_e32 vcc_lo, 0, v2
	v_bfe_u32 v26, v13, 20, 11
	v_and_or_b32 v15, 0x8000, v21, v15
	v_lshrrev_b32_e32 v13, 16, v13
	v_cndmask_b32_e64 v2, 0, 1, vcc_lo
	v_cmp_ne_u32_e32 vcc_lo, v4, v27
	v_sub_nc_u32_e32 v29, 0x3f1, v26
	v_and_b32_e32 v15, 0xffff, v15
	v_lshl_or_b32 v2, v2, 9, 0x7c00
	v_cndmask_b32_e64 v4, 0, 1, vcc_lo
	v_cmp_ne_u32_e32 vcc_lo, 0, v5
	v_or_b32_e32 v27, v28, v4
	v_cndmask_b32_e64 v5, 0, 1, vcc_lo
	v_cmp_eq_u32_e32 vcc_lo, 0x40f, v20
	v_lshl_or_b32 v28, v12, 12, v6
	v_and_or_b32 v24, 0xffe, v24, v5
	v_mul_f64 v[4:5], v[18:19], s[18:19]
	v_cndmask_b32_e32 v2, v23, v2, vcc_lo
	v_cmp_gt_i32_e32 vcc_lo, 1, v12
	v_med3_i32 v19, v29, 0, 13
	v_or_b32_e32 v18, 0x1000, v24
	v_and_or_b32 v25, 0x8000, v3, v2
	v_cndmask_b32_e32 v20, v28, v27, vcc_lo
	v_mul_f16_sdwa v2, v10, v16 dst_sel:DWORD dst_unused:UNUSED_PAD src0_sel:DWORD src1_sel:WORD_1
	v_lshrrev_b32_e32 v21, v19, v18
	v_and_b32_e32 v23, 7, v20
	v_lshrrev_b32_e32 v10, 2, v20
	v_lshlrev_b32_e32 v3, v19, v21
	v_fma_f16 v2, v16, v22, -v2
	v_add_nc_u32_e32 v16, 0xfffffc10, v26
	v_cmp_lt_i32_e32 vcc_lo, 5, v23
	v_cmp_eq_u32_e64 s0, 3, v23
	v_cmp_ne_u32_e64 s1, v3, v18
	v_cvt_f32_f16_e32 v2, v2
	v_lshl_or_b32 v19, v16, 12, v24
	v_and_or_b32 v4, 0x1ff, v5, v4
	s_or_b32 vcc_lo, s0, vcc_lo
	v_cndmask_b32_e64 v3, 0, 1, s1
	v_add_co_ci_u32_e32 v10, vcc_lo, 0, v10, vcc_lo
	v_cmp_ne_u32_e32 vcc_lo, 0, v4
	v_lshrrev_b32_e32 v20, 8, v5
	v_or_b32_e32 v18, v21, v3
	v_cvt_f64_f32_e32 v[2:3], v2
	v_bfe_u32 v21, v5, 20, 11
	v_cndmask_b32_e64 v4, 0, 1, vcc_lo
	v_cmp_ne_u32_e32 vcc_lo, 0, v6
	v_lshl_or_b32 v23, v25, 16, v15
	v_lshrrev_b32_e32 v15, 16, v7
	v_add_co_u32 v8, s1, v8, s17
	v_cndmask_b32_e64 v6, 0, 1, vcc_lo
	v_cmp_gt_i32_e32 vcc_lo, 1, v16
	v_and_or_b32 v4, 0xffe, v20, v4
	v_add_co_ci_u32_e64 v9, s1, s20, v9, s1
	v_lshl_or_b32 v6, v6, 9, 0x7c00
	v_cndmask_b32_e32 v18, v19, v18, vcc_lo
	v_cmp_gt_i32_e32 vcc_lo, 31, v12
	v_sub_nc_u32_e32 v19, 0x3f1, v21
	v_or_b32_e32 v22, 0x1000, v4
	v_add_nc_u32_e32 v21, 0xfffffc10, v21
	v_and_b32_e32 v20, 7, v18
	v_cndmask_b32_e32 v10, 0x7c00, v10, vcc_lo
	v_cmp_eq_u32_e32 vcc_lo, 0x40f, v12
	v_med3_i32 v19, v19, 0, 13
	v_lshrrev_b32_e32 v7, 2, v18
	v_cmp_eq_u32_e64 s0, 3, v20
	v_lshrrev_b32_e32 v12, 16, v11
	v_cndmask_b32_e32 v10, v10, v6, vcc_lo
	v_cmp_lt_i32_e32 vcc_lo, 5, v20
	v_lshrrev_b32_e32 v6, v19, v22
	v_mul_f64 v[2:3], v[2:3], s[18:19]
	s_waitcnt vmcnt(1)
	v_mul_f16_sdwa v18, v12, v14 dst_sel:DWORD dst_unused:UNUSED_PAD src0_sel:DWORD src1_sel:WORD_1
	v_and_or_b32 v10, 0x8000, v15, v10
	s_or_b32 vcc_lo, s0, vcc_lo
	v_lshlrev_b32_e32 v19, v19, v6
	v_add_co_ci_u32_e32 v7, vcc_lo, 0, v7, vcc_lo
	v_cmp_ne_u32_e32 vcc_lo, 0, v24
	v_fmac_f16_e32 v18, v11, v14
	v_and_b32_e32 v10, 0xffff, v10
	v_mul_f16_sdwa v24, v11, v14 dst_sel:DWORD dst_unused:UNUSED_PAD src0_sel:DWORD src1_sel:WORD_1
	v_cndmask_b32_e64 v20, 0, 1, vcc_lo
	v_cmp_ne_u32_e32 vcc_lo, v19, v22
	v_cvt_f32_f16_e32 v18, v18
	v_fma_f16 v12, v14, v12, -v24
	v_lshl_or_b32 v20, v20, 9, 0x7c00
	v_cndmask_b32_e64 v19, 0, 1, vcc_lo
	v_cmp_gt_i32_e32 vcc_lo, 31, v16
	v_cvt_f32_f16_e32 v12, v12
	v_and_or_b32 v2, 0x1ff, v3, v2
	v_or_b32_e32 v19, v6, v19
	v_cndmask_b32_e32 v22, 0x7c00, v7, vcc_lo
	v_cmp_eq_u32_e32 vcc_lo, 0x40f, v16
	v_cvt_f64_f32_e32 v[6:7], v18
	v_lshl_or_b32 v18, v21, 12, v4
	v_cndmask_b32_e32 v16, v22, v20, vcc_lo
	v_cmp_gt_i32_e32 vcc_lo, 1, v21
	v_bfe_u32 v20, v3, 20, 11
	v_and_or_b32 v13, 0x8000, v13, v16
	v_cndmask_b32_e32 v18, v18, v19, vcc_lo
	v_cmp_ne_u32_e32 vcc_lo, 0, v2
	v_lshrrev_b32_e32 v19, 8, v3
	v_sub_nc_u32_e32 v16, 0x3f1, v20
	v_and_b32_e32 v15, 7, v18
	v_cndmask_b32_e64 v2, 0, 1, vcc_lo
	v_lshrrev_b32_e32 v18, 2, v18
	v_med3_i32 v16, v16, 0, 13
	v_cmp_lt_i32_e32 vcc_lo, 5, v15
	v_and_or_b32 v2, 0xffe, v19, v2
	v_cmp_eq_u32_e64 s0, 3, v15
	v_mul_f64 v[6:7], v[6:7], s[18:19]
	v_lshl_or_b32 v19, v13, 16, v10
	v_or_b32_e32 v15, 0x1000, v2
	s_or_b32 vcc_lo, s0, vcc_lo
	v_add_co_ci_u32_e32 v10, vcc_lo, 0, v18, vcc_lo
	v_lshrrev_b32_e32 v13, v16, v15
	v_cmp_ne_u32_e32 vcc_lo, 0, v4
	v_add_nc_u32_e32 v18, 0xc00, v40
	v_lshlrev_b32_e32 v16, v16, v13
	v_cndmask_b32_e64 v4, 0, 1, vcc_lo
	v_cmp_gt_i32_e32 vcc_lo, 31, v21
	v_lshl_or_b32 v4, v4, 9, 0x7c00
	v_cndmask_b32_e32 v22, 0x7c00, v10, vcc_lo
	v_cmp_ne_u32_e32 vcc_lo, v16, v15
	ds_read2_b32 v[10:11], v18 offset0:2 offset1:72
	v_and_or_b32 v6, 0x1ff, v7, v6
	v_add_nc_u32_e32 v16, 0xfffffc10, v20
	v_lshrrev_b32_e32 v18, 8, v7
	v_cndmask_b32_e64 v15, 0, 1, vcc_lo
	v_cmp_eq_u32_e32 vcc_lo, 0x40f, v21
	v_bfe_u32 v20, v7, 20, 11
	v_lshrrev_b32_e32 v21, 16, v5
	v_lshrrev_b32_e32 v7, 16, v7
	v_cndmask_b32_e32 v14, v22, v4, vcc_lo
	v_cmp_ne_u32_e32 vcc_lo, 0, v6
	v_or_b32_e32 v4, v13, v15
	v_lshl_or_b32 v15, v16, 12, v2
	v_cvt_f64_f32_e32 v[12:13], v12
	v_and_or_b32 v21, 0x8000, v21, v14
	v_cndmask_b32_e64 v6, 0, 1, vcc_lo
	v_cmp_gt_i32_e32 vcc_lo, 1, v16
	v_and_or_b32 v6, 0xffe, v18, v6
	v_cndmask_b32_e32 v15, v15, v4, vcc_lo
	v_sub_nc_u32_e32 v4, 0x3f1, v20
	s_waitcnt lgkmcnt(0)
	v_lshrrev_b32_e32 v18, 16, v10
	v_add_nc_u32_e32 v20, 0xfffffc10, v20
	v_or_b32_e32 v24, 0x1000, v6
	v_and_b32_e32 v22, 7, v15
	v_med3_i32 v25, v4, 0, 13
	s_waitcnt vmcnt(0)
	v_mul_f16_sdwa v26, v18, v17 dst_sel:DWORD dst_unused:UNUSED_PAD src0_sel:DWORD src1_sel:WORD_1
	v_add_co_u32 v4, vcc_lo, v8, s17
	v_add_co_ci_u32_e32 v5, vcc_lo, s20, v9, vcc_lo
	v_lshrrev_b32_e32 v27, v25, v24
	v_fmac_f16_e32 v26, v10, v17
	v_cmp_lt_i32_e32 vcc_lo, 5, v22
	v_cmp_eq_u32_e64 s0, 3, v22
	v_lshrrev_b32_e32 v14, 2, v15
	v_lshlrev_b32_e32 v22, v25, v27
	v_cvt_f32_f16_e32 v15, v26
	v_mul_f64 v[12:13], v[12:13], s[18:19]
	s_or_b32 vcc_lo, s0, vcc_lo
	v_mul_f16_sdwa v10, v10, v17 dst_sel:DWORD dst_unused:UNUSED_PAD src0_sel:DWORD src1_sel:WORD_1
	v_add_co_ci_u32_e32 v25, vcc_lo, 0, v14, vcc_lo
	v_cmp_ne_u32_e32 vcc_lo, v22, v24
	v_cvt_f64_f32_e32 v[14:15], v15
	v_lshl_or_b32 v24, v20, 12, v6
	v_fma_f16 v10, v17, v18, -v10
	v_cndmask_b32_e64 v22, 0, 1, vcc_lo
	v_cmp_ne_u32_e32 vcc_lo, 0, v2
	v_cvt_f32_f16_e32 v10, v10
	v_or_b32_e32 v22, v27, v22
	v_cndmask_b32_e64 v2, 0, 1, vcc_lo
	v_cmp_gt_i32_e32 vcc_lo, 31, v16
	v_lshl_or_b32 v2, v2, 9, 0x7c00
	v_cndmask_b32_e32 v17, 0x7c00, v25, vcc_lo
	v_cmp_gt_i32_e32 vcc_lo, 1, v20
	v_and_or_b32 v12, 0x1ff, v13, v12
	v_cndmask_b32_e32 v18, v24, v22, vcc_lo
	v_cmp_eq_u32_e32 vcc_lo, 0x40f, v16
	v_mul_f64 v[14:15], v[14:15], s[18:19]
	v_lshrrev_b32_e32 v22, 8, v13
	v_bfe_u32 v24, v13, 20, 11
	v_lshrrev_b32_e32 v13, 16, v13
	v_cndmask_b32_e32 v16, v17, v2, vcc_lo
	v_lshrrev_b32_e32 v17, 16, v3
	v_cvt_f64_f32_e32 v[2:3], v10
	v_cmp_ne_u32_e32 vcc_lo, 0, v12
	v_and_b32_e32 v10, 7, v18
	v_and_or_b32 v16, 0x8000, v17, v16
	v_and_b32_e32 v17, 0xffff, v21
	v_cndmask_b32_e64 v12, 0, 1, vcc_lo
	v_cmp_lt_i32_e32 vcc_lo, 5, v10
	v_cmp_eq_u32_e64 s0, 3, v10
	v_sub_nc_u32_e32 v21, 0x3f1, v24
	v_lshl_or_b32 v10, v16, 16, v17
	v_lshrrev_b32_e32 v16, 2, v18
	v_and_or_b32 v12, 0xffe, v22, v12
	s_or_b32 vcc_lo, s0, vcc_lo
	v_med3_i32 v18, v21, 0, 13
	v_add_co_ci_u32_e32 v16, vcc_lo, 0, v16, vcc_lo
	v_or_b32_e32 v17, 0x1000, v12
	v_cmp_ne_u32_e32 vcc_lo, 0, v6
	v_and_or_b32 v14, 0x1ff, v15, v14
	v_lshrrev_b32_e32 v22, 8, v15
	v_mul_f64 v[2:3], v[2:3], s[18:19]
	v_lshrrev_b32_e32 v21, v18, v17
	v_cndmask_b32_e64 v6, 0, 1, vcc_lo
	v_cmp_gt_i32_e32 vcc_lo, 31, v20
	v_bfe_u32 v25, v15, 20, 11
	v_lshrrev_b32_e32 v15, 16, v15
	v_lshlrev_b32_e32 v18, v18, v21
	v_lshl_or_b32 v6, v6, 9, 0x7c00
	v_cndmask_b32_e32 v16, 0x7c00, v16, vcc_lo
	v_cmp_ne_u32_e32 vcc_lo, 0, v14
	v_cndmask_b32_e64 v14, 0, 1, vcc_lo
	v_cmp_ne_u32_e32 vcc_lo, v18, v17
	v_add_nc_u32_e32 v18, 0xfffffc10, v24
	v_and_or_b32 v14, 0xffe, v22, v14
	v_cndmask_b32_e64 v17, 0, 1, vcc_lo
	v_sub_nc_u32_e32 v22, 0x3f1, v25
	v_cmp_eq_u32_e32 vcc_lo, 0x40f, v20
	v_and_or_b32 v2, 0x1ff, v3, v2
	v_or_b32_e32 v20, 0x1000, v14
	v_bfe_u32 v24, v3, 20, 11
	v_cndmask_b32_e32 v6, v16, v6, vcc_lo
	v_or_b32_e32 v16, v21, v17
	v_lshl_or_b32 v17, v18, 12, v12
	v_med3_i32 v21, v22, 0, 13
	v_cmp_gt_i32_e32 vcc_lo, 1, v18
	v_lshrrev_b32_e32 v22, 8, v3
	v_and_or_b32 v6, 0x8000, v7, v6
	v_sub_nc_u32_e32 v7, 0x3f1, v24
	v_cndmask_b32_e32 v16, v17, v16, vcc_lo
	v_lshrrev_b32_e32 v17, v21, v20
	v_cmp_ne_u32_e32 vcc_lo, 0, v2
	v_med3_i32 v7, v7, 0, 13
	v_and_b32_e32 v6, 0xffff, v6
	v_and_b32_e32 v26, 7, v16
	v_lshlrev_b32_e32 v21, v21, v17
	v_cndmask_b32_e64 v2, 0, 1, vcc_lo
	v_lshrrev_b32_e32 v16, 2, v16
	v_cmp_lt_i32_e32 vcc_lo, 5, v26
	v_cmp_ne_u32_e64 s0, v21, v20
	v_and_or_b32 v2, 0xffe, v22, v2
	v_add_nc_u32_e32 v22, 0xfffffc10, v25
	v_cndmask_b32_e64 v20, 0, 1, s0
	v_cmp_eq_u32_e64 s0, 3, v26
	v_or_b32_e32 v21, 0x1000, v2
	v_lshl_or_b32 v25, v22, 12, v14
	v_or_b32_e32 v17, v17, v20
	s_or_b32 vcc_lo, s0, vcc_lo
	v_lshrrev_b32_e32 v20, v7, v21
	v_add_co_ci_u32_e32 v16, vcc_lo, 0, v16, vcc_lo
	v_cmp_gt_i32_e32 vcc_lo, 1, v22
	v_lshlrev_b32_e32 v7, v7, v20
	v_cndmask_b32_e32 v17, v25, v17, vcc_lo
	v_cmp_ne_u32_e32 vcc_lo, 0, v12
	v_cndmask_b32_e64 v12, 0, 1, vcc_lo
	v_cmp_ne_u32_e32 vcc_lo, v7, v21
	v_add_nc_u32_e32 v21, 0xfffffc10, v24
	v_and_b32_e32 v24, 7, v17
	v_lshl_or_b32 v12, v12, 9, 0x7c00
	v_cndmask_b32_e64 v7, 0, 1, vcc_lo
	v_cmp_gt_i32_e32 vcc_lo, 31, v18
	v_cmp_gt_i32_e64 s1, 1, v21
	v_cmp_eq_u32_e64 s0, 3, v24
	v_or_b32_e32 v7, v20, v7
	v_lshl_or_b32 v20, v21, 12, v2
	v_cndmask_b32_e32 v16, 0x7c00, v16, vcc_lo
	v_cmp_lt_i32_e32 vcc_lo, 5, v24
	v_cndmask_b32_e64 v7, v20, v7, s1
	v_cmp_eq_u32_e64 s1, 0x40f, v18
	s_or_b32 vcc_lo, s0, vcc_lo
	v_cndmask_b32_e64 v12, v16, v12, s1
	v_lshrrev_b32_e32 v16, 2, v17
	v_and_b32_e32 v17, 7, v7
	v_lshrrev_b32_e32 v7, 2, v7
	v_cmp_gt_i32_e64 s1, 31, v22
	v_and_or_b32 v12, 0x8000, v13, v12
	v_add_co_ci_u32_e32 v16, vcc_lo, 0, v16, vcc_lo
	v_cmp_ne_u32_e32 vcc_lo, 0, v14
	v_cmp_eq_u32_e64 s0, 3, v17
	v_cndmask_b32_e64 v16, 0x7c00, v16, s1
	v_cndmask_b32_e64 v14, 0, 1, vcc_lo
	v_cmp_lt_i32_e32 vcc_lo, 5, v17
	v_lshl_or_b32 v14, v14, 9, 0x7c00
	s_or_b32 vcc_lo, s0, vcc_lo
	v_add_co_ci_u32_e32 v7, vcc_lo, 0, v7, vcc_lo
	v_cmp_ne_u32_e32 vcc_lo, 0, v2
	v_cndmask_b32_e64 v2, 0, 1, vcc_lo
	v_cmp_eq_u32_e32 vcc_lo, 0x40f, v22
	v_lshl_or_b32 v2, v2, 9, 0x7c00
	v_cndmask_b32_e32 v14, v16, v14, vcc_lo
	v_cmp_gt_i32_e32 vcc_lo, 31, v21
	v_and_or_b32 v13, 0x8000, v15, v14
	v_cndmask_b32_e32 v7, 0x7c00, v7, vcc_lo
	v_cmp_eq_u32_e32 vcc_lo, 0x40f, v21
	v_lshrrev_b32_e32 v14, 16, v3
	v_lshl_or_b32 v15, v12, 16, v6
	v_and_b32_e32 v13, 0xffff, v13
	v_cndmask_b32_e32 v7, v7, v2, vcc_lo
	v_add_co_u32 v2, vcc_lo, v4, s17
	v_add_co_ci_u32_e32 v3, vcc_lo, s20, v5, vcc_lo
	v_and_or_b32 v12, 0x8000, v14, v7
	v_add_co_u32 v6, vcc_lo, v2, s17
	v_add_co_ci_u32_e32 v7, vcc_lo, s20, v3, vcc_lo
	v_lshl_or_b32 v14, v12, 16, v13
	v_add_co_u32 v12, vcc_lo, v6, s17
	v_add_co_ci_u32_e32 v13, vcc_lo, s20, v7, vcc_lo
	global_store_dword v[8:9], v23, off
	global_store_dword v[4:5], v19, off
	;; [unrolled: 1-line block ×5, first 2 shown]
	global_load_dword v0, v[0:1], off offset:1312
	v_lshrrev_b32_e32 v1, 16, v11
	s_waitcnt vmcnt(0)
	v_mul_f16_sdwa v2, v1, v0 dst_sel:DWORD dst_unused:UNUSED_PAD src0_sel:DWORD src1_sel:WORD_1
	v_mul_f16_sdwa v3, v11, v0 dst_sel:DWORD dst_unused:UNUSED_PAD src0_sel:DWORD src1_sel:WORD_1
	v_fmac_f16_e32 v2, v11, v0
	v_fma_f16 v0, v0, v1, -v3
	v_cvt_f32_f16_e32 v1, v2
	v_cvt_f32_f16_e32 v2, v0
	v_cvt_f64_f32_e32 v[0:1], v1
	v_cvt_f64_f32_e32 v[2:3], v2
	v_mul_f64 v[0:1], v[0:1], s[18:19]
	v_mul_f64 v[2:3], v[2:3], s[18:19]
	v_and_or_b32 v0, 0x1ff, v1, v0
	v_and_or_b32 v2, 0x1ff, v3, v2
	v_lshrrev_b32_e32 v4, 8, v1
	v_bfe_u32 v5, v1, 20, 11
	v_lshrrev_b32_e32 v6, 8, v3
	v_cmp_ne_u32_e32 vcc_lo, 0, v0
	v_bfe_u32 v7, v3, 20, 11
	v_lshrrev_b32_e32 v1, 16, v1
	v_lshrrev_b32_e32 v3, 16, v3
	v_cndmask_b32_e64 v0, 0, 1, vcc_lo
	v_cmp_ne_u32_e32 vcc_lo, 0, v2
	v_and_or_b32 v0, 0xffe, v4, v0
	v_cndmask_b32_e64 v2, 0, 1, vcc_lo
	v_sub_nc_u32_e32 v4, 0x3f1, v5
	v_add_nc_u32_e32 v5, 0xfffffc10, v5
	v_or_b32_e32 v8, 0x1000, v0
	v_and_or_b32 v2, 0xffe, v6, v2
	v_sub_nc_u32_e32 v6, 0x3f1, v7
	v_med3_i32 v4, v4, 0, 13
	v_add_nc_u32_e32 v7, 0xfffffc10, v7
	v_or_b32_e32 v9, 0x1000, v2
	v_med3_i32 v6, v6, 0, 13
	v_lshrrev_b32_e32 v10, v4, v8
	v_lshrrev_b32_e32 v11, v6, v9
	v_lshlrev_b32_e32 v4, v4, v10
	v_lshlrev_b32_e32 v6, v6, v11
	v_cmp_ne_u32_e32 vcc_lo, v4, v8
	v_lshl_or_b32 v8, v5, 12, v0
	v_cndmask_b32_e64 v4, 0, 1, vcc_lo
	v_cmp_ne_u32_e32 vcc_lo, v6, v9
	v_lshl_or_b32 v9, v7, 12, v2
	v_or_b32_e32 v4, v10, v4
	v_cndmask_b32_e64 v6, 0, 1, vcc_lo
	v_cmp_gt_i32_e32 vcc_lo, 1, v5
	v_or_b32_e32 v6, v11, v6
	v_cndmask_b32_e32 v4, v8, v4, vcc_lo
	v_cmp_gt_i32_e32 vcc_lo, 1, v7
	v_and_b32_e32 v8, 7, v4
	v_cndmask_b32_e32 v6, v9, v6, vcc_lo
	v_lshrrev_b32_e32 v4, 2, v4
	v_cmp_lt_i32_e32 vcc_lo, 5, v8
	v_cmp_eq_u32_e64 s0, 3, v8
	v_and_b32_e32 v9, 7, v6
	v_lshrrev_b32_e32 v6, 2, v6
	s_or_b32 vcc_lo, s0, vcc_lo
	v_cmp_lt_i32_e64 s1, 5, v9
	v_add_co_ci_u32_e32 v4, vcc_lo, 0, v4, vcc_lo
	v_cmp_eq_u32_e64 s2, 3, v9
	v_cmp_ne_u32_e32 vcc_lo, 0, v0
	v_cndmask_b32_e64 v0, 0, 1, vcc_lo
	s_or_b32 vcc_lo, s2, s1
	v_add_co_ci_u32_e32 v6, vcc_lo, 0, v6, vcc_lo
	v_cmp_ne_u32_e32 vcc_lo, 0, v2
	v_lshl_or_b32 v0, v0, 9, 0x7c00
	v_cndmask_b32_e64 v2, 0, 1, vcc_lo
	v_cmp_gt_i32_e32 vcc_lo, 31, v5
	v_lshl_or_b32 v2, v2, 9, 0x7c00
	v_cndmask_b32_e32 v4, 0x7c00, v4, vcc_lo
	v_cmp_gt_i32_e32 vcc_lo, 31, v7
	v_cndmask_b32_e32 v6, 0x7c00, v6, vcc_lo
	v_cmp_eq_u32_e32 vcc_lo, 0x40f, v5
	v_cndmask_b32_e32 v0, v4, v0, vcc_lo
	v_cmp_eq_u32_e32 vcc_lo, 0x40f, v7
	v_and_or_b32 v0, 0x8000, v1, v0
	v_cndmask_b32_e32 v2, v6, v2, vcc_lo
	v_and_b32_e32 v0, 0xffff, v0
	v_and_or_b32 v1, 0x8000, v3, v2
	v_lshl_or_b32 v2, v1, 16, v0
	v_add_co_u32 v0, vcc_lo, v12, s17
	v_add_co_ci_u32_e32 v1, vcc_lo, s20, v13, vcc_lo
	global_store_dword v[0:1], v2, off
.LBB0_23:
	s_endpgm
	.section	.rodata,"a",@progbits
	.p2align	6, 0x0
	.amdhsa_kernel bluestein_single_fwd_len910_dim1_half_op_CI_CI
		.amdhsa_group_segment_fixed_size 7280
		.amdhsa_private_segment_fixed_size 0
		.amdhsa_kernarg_size 104
		.amdhsa_user_sgpr_count 6
		.amdhsa_user_sgpr_private_segment_buffer 1
		.amdhsa_user_sgpr_dispatch_ptr 0
		.amdhsa_user_sgpr_queue_ptr 0
		.amdhsa_user_sgpr_kernarg_segment_ptr 1
		.amdhsa_user_sgpr_dispatch_id 0
		.amdhsa_user_sgpr_flat_scratch_init 0
		.amdhsa_user_sgpr_private_segment_size 0
		.amdhsa_wavefront_size32 1
		.amdhsa_uses_dynamic_stack 0
		.amdhsa_system_sgpr_private_segment_wavefront_offset 0
		.amdhsa_system_sgpr_workgroup_id_x 1
		.amdhsa_system_sgpr_workgroup_id_y 0
		.amdhsa_system_sgpr_workgroup_id_z 0
		.amdhsa_system_sgpr_workgroup_info 0
		.amdhsa_system_vgpr_workitem_id 0
		.amdhsa_next_free_vgpr 179
		.amdhsa_next_free_sgpr 21
		.amdhsa_reserve_vcc 1
		.amdhsa_reserve_flat_scratch 0
		.amdhsa_float_round_mode_32 0
		.amdhsa_float_round_mode_16_64 0
		.amdhsa_float_denorm_mode_32 3
		.amdhsa_float_denorm_mode_16_64 3
		.amdhsa_dx10_clamp 1
		.amdhsa_ieee_mode 1
		.amdhsa_fp16_overflow 0
		.amdhsa_workgroup_processor_mode 1
		.amdhsa_memory_ordered 1
		.amdhsa_forward_progress 0
		.amdhsa_shared_vgpr_count 0
		.amdhsa_exception_fp_ieee_invalid_op 0
		.amdhsa_exception_fp_denorm_src 0
		.amdhsa_exception_fp_ieee_div_zero 0
		.amdhsa_exception_fp_ieee_overflow 0
		.amdhsa_exception_fp_ieee_underflow 0
		.amdhsa_exception_fp_ieee_inexact 0
		.amdhsa_exception_int_div_zero 0
	.end_amdhsa_kernel
	.text
.Lfunc_end0:
	.size	bluestein_single_fwd_len910_dim1_half_op_CI_CI, .Lfunc_end0-bluestein_single_fwd_len910_dim1_half_op_CI_CI
                                        ; -- End function
	.section	.AMDGPU.csdata,"",@progbits
; Kernel info:
; codeLenInByte = 23648
; NumSgprs: 23
; NumVgprs: 179
; ScratchSize: 0
; MemoryBound: 0
; FloatMode: 240
; IeeeMode: 1
; LDSByteSize: 7280 bytes/workgroup (compile time only)
; SGPRBlocks: 2
; VGPRBlocks: 22
; NumSGPRsForWavesPerEU: 23
; NumVGPRsForWavesPerEU: 179
; Occupancy: 5
; WaveLimiterHint : 1
; COMPUTE_PGM_RSRC2:SCRATCH_EN: 0
; COMPUTE_PGM_RSRC2:USER_SGPR: 6
; COMPUTE_PGM_RSRC2:TRAP_HANDLER: 0
; COMPUTE_PGM_RSRC2:TGID_X_EN: 1
; COMPUTE_PGM_RSRC2:TGID_Y_EN: 0
; COMPUTE_PGM_RSRC2:TGID_Z_EN: 0
; COMPUTE_PGM_RSRC2:TIDIG_COMP_CNT: 0
	.text
	.p2alignl 6, 3214868480
	.fill 48, 4, 3214868480
	.type	__hip_cuid_e36718ace7b073ce,@object ; @__hip_cuid_e36718ace7b073ce
	.section	.bss,"aw",@nobits
	.globl	__hip_cuid_e36718ace7b073ce
__hip_cuid_e36718ace7b073ce:
	.byte	0                               ; 0x0
	.size	__hip_cuid_e36718ace7b073ce, 1

	.ident	"AMD clang version 19.0.0git (https://github.com/RadeonOpenCompute/llvm-project roc-6.4.0 25133 c7fe45cf4b819c5991fe208aaa96edf142730f1d)"
	.section	".note.GNU-stack","",@progbits
	.addrsig
	.addrsig_sym __hip_cuid_e36718ace7b073ce
	.amdgpu_metadata
---
amdhsa.kernels:
  - .args:
      - .actual_access:  read_only
        .address_space:  global
        .offset:         0
        .size:           8
        .value_kind:     global_buffer
      - .actual_access:  read_only
        .address_space:  global
        .offset:         8
        .size:           8
        .value_kind:     global_buffer
      - .actual_access:  read_only
        .address_space:  global
        .offset:         16
        .size:           8
        .value_kind:     global_buffer
      - .actual_access:  read_only
        .address_space:  global
        .offset:         24
        .size:           8
        .value_kind:     global_buffer
      - .actual_access:  read_only
        .address_space:  global
        .offset:         32
        .size:           8
        .value_kind:     global_buffer
      - .offset:         40
        .size:           8
        .value_kind:     by_value
      - .address_space:  global
        .offset:         48
        .size:           8
        .value_kind:     global_buffer
      - .address_space:  global
        .offset:         56
        .size:           8
        .value_kind:     global_buffer
      - .address_space:  global
        .offset:         64
        .size:           8
        .value_kind:     global_buffer
      - .address_space:  global
        .offset:         72
        .size:           8
        .value_kind:     global_buffer
      - .offset:         80
        .size:           4
        .value_kind:     by_value
      - .address_space:  global
        .offset:         88
        .size:           8
        .value_kind:     global_buffer
      - .address_space:  global
        .offset:         96
        .size:           8
        .value_kind:     global_buffer
    .group_segment_fixed_size: 7280
    .kernarg_segment_align: 8
    .kernarg_segment_size: 104
    .language:       OpenCL C
    .language_version:
      - 2
      - 0
    .max_flat_workgroup_size: 182
    .name:           bluestein_single_fwd_len910_dim1_half_op_CI_CI
    .private_segment_fixed_size: 0
    .sgpr_count:     23
    .sgpr_spill_count: 0
    .symbol:         bluestein_single_fwd_len910_dim1_half_op_CI_CI.kd
    .uniform_work_group_size: 1
    .uses_dynamic_stack: false
    .vgpr_count:     179
    .vgpr_spill_count: 0
    .wavefront_size: 32
    .workgroup_processor_mode: 1
amdhsa.target:   amdgcn-amd-amdhsa--gfx1030
amdhsa.version:
  - 1
  - 2
...

	.end_amdgpu_metadata
